;; amdgpu-corpus repo=ROCm/rocFFT kind=compiled arch=gfx1030 opt=O3
	.text
	.amdgcn_target "amdgcn-amd-amdhsa--gfx1030"
	.amdhsa_code_object_version 6
	.protected	fft_rtc_back_len816_factors_17_2_3_2_2_2_wgs_51_tpt_51_halfLds_sp_ip_CI_sbrr_dirReg ; -- Begin function fft_rtc_back_len816_factors_17_2_3_2_2_2_wgs_51_tpt_51_halfLds_sp_ip_CI_sbrr_dirReg
	.globl	fft_rtc_back_len816_factors_17_2_3_2_2_2_wgs_51_tpt_51_halfLds_sp_ip_CI_sbrr_dirReg
	.p2align	8
	.type	fft_rtc_back_len816_factors_17_2_3_2_2_2_wgs_51_tpt_51_halfLds_sp_ip_CI_sbrr_dirReg,@function
fft_rtc_back_len816_factors_17_2_3_2_2_2_wgs_51_tpt_51_halfLds_sp_ip_CI_sbrr_dirReg: ; @fft_rtc_back_len816_factors_17_2_3_2_2_2_wgs_51_tpt_51_halfLds_sp_ip_CI_sbrr_dirReg
; %bb.0:
	s_clause 0x2
	s_load_dwordx2 s[14:15], s[4:5], 0x18
	s_load_dwordx4 s[8:11], s[4:5], 0x0
	s_load_dwordx2 s[12:13], s[4:5], 0x50
	v_mul_u32_u24_e32 v1, 0x506, v0
	v_mov_b32_e32 v3, 0
	v_add_nc_u32_sdwa v5, s6, v1 dst_sel:DWORD dst_unused:UNUSED_PAD src0_sel:DWORD src1_sel:WORD_1
	v_mov_b32_e32 v1, 0
	v_mov_b32_e32 v6, v3
	v_mov_b32_e32 v2, 0
	s_waitcnt lgkmcnt(0)
	s_load_dwordx2 s[2:3], s[14:15], 0x0
	v_cmp_lt_u64_e64 s0, s[10:11], 2
	s_and_b32 vcc_lo, exec_lo, s0
	s_cbranch_vccnz .LBB0_8
; %bb.1:
	s_load_dwordx2 s[0:1], s[4:5], 0x10
	v_mov_b32_e32 v1, 0
	s_add_u32 s6, s14, 8
	v_mov_b32_e32 v2, 0
	s_addc_u32 s7, s15, 0
	s_mov_b64 s[18:19], 1
	s_waitcnt lgkmcnt(0)
	s_add_u32 s16, s0, 8
	s_addc_u32 s17, s1, 0
.LBB0_2:                                ; =>This Inner Loop Header: Depth=1
	s_load_dwordx2 s[20:21], s[16:17], 0x0
                                        ; implicit-def: $vgpr7_vgpr8
	s_mov_b32 s0, exec_lo
	s_waitcnt lgkmcnt(0)
	v_or_b32_e32 v4, s21, v6
	v_cmpx_ne_u64_e32 0, v[3:4]
	s_xor_b32 s1, exec_lo, s0
	s_cbranch_execz .LBB0_4
; %bb.3:                                ;   in Loop: Header=BB0_2 Depth=1
	v_cvt_f32_u32_e32 v4, s20
	v_cvt_f32_u32_e32 v7, s21
	s_sub_u32 s0, 0, s20
	s_subb_u32 s22, 0, s21
	v_fmac_f32_e32 v4, 0x4f800000, v7
	v_rcp_f32_e32 v4, v4
	v_mul_f32_e32 v4, 0x5f7ffffc, v4
	v_mul_f32_e32 v7, 0x2f800000, v4
	v_trunc_f32_e32 v7, v7
	v_fmac_f32_e32 v4, 0xcf800000, v7
	v_cvt_u32_f32_e32 v7, v7
	v_cvt_u32_f32_e32 v4, v4
	v_mul_lo_u32 v8, s0, v7
	v_mul_hi_u32 v9, s0, v4
	v_mul_lo_u32 v10, s22, v4
	v_add_nc_u32_e32 v8, v9, v8
	v_mul_lo_u32 v9, s0, v4
	v_add_nc_u32_e32 v8, v8, v10
	v_mul_hi_u32 v10, v4, v9
	v_mul_lo_u32 v11, v4, v8
	v_mul_hi_u32 v12, v4, v8
	v_mul_hi_u32 v13, v7, v9
	v_mul_lo_u32 v9, v7, v9
	v_mul_hi_u32 v14, v7, v8
	v_mul_lo_u32 v8, v7, v8
	v_add_co_u32 v10, vcc_lo, v10, v11
	v_add_co_ci_u32_e32 v11, vcc_lo, 0, v12, vcc_lo
	v_add_co_u32 v9, vcc_lo, v10, v9
	v_add_co_ci_u32_e32 v9, vcc_lo, v11, v13, vcc_lo
	v_add_co_ci_u32_e32 v10, vcc_lo, 0, v14, vcc_lo
	v_add_co_u32 v8, vcc_lo, v9, v8
	v_add_co_ci_u32_e32 v9, vcc_lo, 0, v10, vcc_lo
	v_add_co_u32 v4, vcc_lo, v4, v8
	v_add_co_ci_u32_e32 v7, vcc_lo, v7, v9, vcc_lo
	v_mul_hi_u32 v8, s0, v4
	v_mul_lo_u32 v10, s22, v4
	v_mul_lo_u32 v9, s0, v7
	v_add_nc_u32_e32 v8, v8, v9
	v_mul_lo_u32 v9, s0, v4
	v_add_nc_u32_e32 v8, v8, v10
	v_mul_hi_u32 v10, v4, v9
	v_mul_lo_u32 v11, v4, v8
	v_mul_hi_u32 v12, v4, v8
	v_mul_hi_u32 v13, v7, v9
	v_mul_lo_u32 v9, v7, v9
	v_mul_hi_u32 v14, v7, v8
	v_mul_lo_u32 v8, v7, v8
	v_add_co_u32 v10, vcc_lo, v10, v11
	v_add_co_ci_u32_e32 v11, vcc_lo, 0, v12, vcc_lo
	v_add_co_u32 v9, vcc_lo, v10, v9
	v_add_co_ci_u32_e32 v9, vcc_lo, v11, v13, vcc_lo
	v_add_co_ci_u32_e32 v10, vcc_lo, 0, v14, vcc_lo
	v_add_co_u32 v8, vcc_lo, v9, v8
	v_add_co_ci_u32_e32 v9, vcc_lo, 0, v10, vcc_lo
	v_add_co_u32 v4, vcc_lo, v4, v8
	v_add_co_ci_u32_e32 v11, vcc_lo, v7, v9, vcc_lo
	v_mul_hi_u32 v13, v5, v4
	v_mad_u64_u32 v[9:10], null, v6, v4, 0
	v_mad_u64_u32 v[7:8], null, v5, v11, 0
	;; [unrolled: 1-line block ×3, first 2 shown]
	v_add_co_u32 v4, vcc_lo, v13, v7
	v_add_co_ci_u32_e32 v7, vcc_lo, 0, v8, vcc_lo
	v_add_co_u32 v4, vcc_lo, v4, v9
	v_add_co_ci_u32_e32 v4, vcc_lo, v7, v10, vcc_lo
	v_add_co_ci_u32_e32 v7, vcc_lo, 0, v12, vcc_lo
	v_add_co_u32 v4, vcc_lo, v4, v11
	v_add_co_ci_u32_e32 v9, vcc_lo, 0, v7, vcc_lo
	v_mul_lo_u32 v10, s21, v4
	v_mad_u64_u32 v[7:8], null, s20, v4, 0
	v_mul_lo_u32 v11, s20, v9
	v_sub_co_u32 v7, vcc_lo, v5, v7
	v_add3_u32 v8, v8, v11, v10
	v_sub_nc_u32_e32 v10, v6, v8
	v_subrev_co_ci_u32_e64 v10, s0, s21, v10, vcc_lo
	v_add_co_u32 v11, s0, v4, 2
	v_add_co_ci_u32_e64 v12, s0, 0, v9, s0
	v_sub_co_u32 v13, s0, v7, s20
	v_sub_co_ci_u32_e32 v8, vcc_lo, v6, v8, vcc_lo
	v_subrev_co_ci_u32_e64 v10, s0, 0, v10, s0
	v_cmp_le_u32_e32 vcc_lo, s20, v13
	v_cmp_eq_u32_e64 s0, s21, v8
	v_cndmask_b32_e64 v13, 0, -1, vcc_lo
	v_cmp_le_u32_e32 vcc_lo, s21, v10
	v_cndmask_b32_e64 v14, 0, -1, vcc_lo
	v_cmp_le_u32_e32 vcc_lo, s20, v7
	;; [unrolled: 2-line block ×3, first 2 shown]
	v_cndmask_b32_e64 v15, 0, -1, vcc_lo
	v_cmp_eq_u32_e32 vcc_lo, s21, v10
	v_cndmask_b32_e64 v7, v15, v7, s0
	v_cndmask_b32_e32 v10, v14, v13, vcc_lo
	v_add_co_u32 v13, vcc_lo, v4, 1
	v_add_co_ci_u32_e32 v14, vcc_lo, 0, v9, vcc_lo
	v_cmp_ne_u32_e32 vcc_lo, 0, v10
	v_cndmask_b32_e32 v8, v14, v12, vcc_lo
	v_cndmask_b32_e32 v10, v13, v11, vcc_lo
	v_cmp_ne_u32_e32 vcc_lo, 0, v7
	v_cndmask_b32_e32 v8, v9, v8, vcc_lo
	v_cndmask_b32_e32 v7, v4, v10, vcc_lo
.LBB0_4:                                ;   in Loop: Header=BB0_2 Depth=1
	s_andn2_saveexec_b32 s0, s1
	s_cbranch_execz .LBB0_6
; %bb.5:                                ;   in Loop: Header=BB0_2 Depth=1
	v_cvt_f32_u32_e32 v4, s20
	s_sub_i32 s1, 0, s20
	v_rcp_iflag_f32_e32 v4, v4
	v_mul_f32_e32 v4, 0x4f7ffffe, v4
	v_cvt_u32_f32_e32 v4, v4
	v_mul_lo_u32 v7, s1, v4
	v_mul_hi_u32 v7, v4, v7
	v_add_nc_u32_e32 v4, v4, v7
	v_mul_hi_u32 v4, v5, v4
	v_mul_lo_u32 v7, v4, s20
	v_add_nc_u32_e32 v8, 1, v4
	v_sub_nc_u32_e32 v7, v5, v7
	v_subrev_nc_u32_e32 v9, s20, v7
	v_cmp_le_u32_e32 vcc_lo, s20, v7
	v_cndmask_b32_e32 v7, v7, v9, vcc_lo
	v_cndmask_b32_e32 v4, v4, v8, vcc_lo
	v_cmp_le_u32_e32 vcc_lo, s20, v7
	v_add_nc_u32_e32 v8, 1, v4
	v_cndmask_b32_e32 v7, v4, v8, vcc_lo
	v_mov_b32_e32 v8, v3
.LBB0_6:                                ;   in Loop: Header=BB0_2 Depth=1
	s_or_b32 exec_lo, exec_lo, s0
	s_load_dwordx2 s[0:1], s[6:7], 0x0
	v_mul_lo_u32 v4, v8, s20
	v_mul_lo_u32 v11, v7, s21
	v_mad_u64_u32 v[9:10], null, v7, s20, 0
	s_add_u32 s18, s18, 1
	s_addc_u32 s19, s19, 0
	s_add_u32 s6, s6, 8
	s_addc_u32 s7, s7, 0
	;; [unrolled: 2-line block ×3, first 2 shown]
	v_add3_u32 v4, v10, v11, v4
	v_sub_co_u32 v5, vcc_lo, v5, v9
	v_sub_co_ci_u32_e32 v4, vcc_lo, v6, v4, vcc_lo
	s_waitcnt lgkmcnt(0)
	v_mul_lo_u32 v6, s1, v5
	v_mul_lo_u32 v4, s0, v4
	v_mad_u64_u32 v[1:2], null, s0, v5, v[1:2]
	v_cmp_ge_u64_e64 s0, s[18:19], s[10:11]
	s_and_b32 vcc_lo, exec_lo, s0
	v_add3_u32 v2, v6, v2, v4
	s_cbranch_vccnz .LBB0_9
; %bb.7:                                ;   in Loop: Header=BB0_2 Depth=1
	v_mov_b32_e32 v5, v7
	v_mov_b32_e32 v6, v8
	s_branch .LBB0_2
.LBB0_8:
	v_mov_b32_e32 v8, v6
	v_mov_b32_e32 v7, v5
.LBB0_9:
	s_lshl_b64 s[0:1], s[10:11], 3
	v_mul_hi_u32 v3, 0x5050506, v0
	s_add_u32 s0, s14, s0
	s_addc_u32 s1, s15, s1
                                        ; implicit-def: $vgpr15
                                        ; implicit-def: $vgpr11
                                        ; implicit-def: $vgpr19
                                        ; implicit-def: $vgpr17
                                        ; implicit-def: $vgpr13
                                        ; implicit-def: $vgpr9
                                        ; implicit-def: $vgpr23
                                        ; implicit-def: $vgpr21
                                        ; implicit-def: $vgpr35
                                        ; implicit-def: $vgpr29
                                        ; implicit-def: $vgpr27
                                        ; implicit-def: $vgpr31
                                        ; implicit-def: $vgpr37
                                        ; implicit-def: $vgpr25
                                        ; implicit-def: $vgpr33
	s_load_dwordx2 s[0:1], s[0:1], 0x0
	s_load_dwordx2 s[4:5], s[4:5], 0x20
	v_mul_u32_u24_e32 v3, 51, v3
	v_sub_nc_u32_e32 v0, v0, v3
	s_waitcnt lgkmcnt(0)
	v_mul_lo_u32 v4, s0, v8
	v_mul_lo_u32 v5, s1, v7
	v_mad_u64_u32 v[1:2], null, s0, v7, v[1:2]
	v_cmp_gt_u64_e32 vcc_lo, s[4:5], v[7:8]
	v_cmp_gt_u32_e64 s0, 48, v0
                                        ; implicit-def: $vgpr7
	s_and_b32 s1, vcc_lo, s0
	v_add3_u32 v2, v5, v2, v4
	v_mov_b32_e32 v5, 0
	v_mov_b32_e32 v4, 0
	v_lshlrev_b64 v[2:3], 3, v[1:2]
	s_and_saveexec_b32 s4, s1
	s_cbranch_execz .LBB0_11
; %bb.10:
	v_mad_u64_u32 v[4:5], null, s2, v0, 0
	v_add_nc_u32_e32 v12, 48, v0
	v_add_nc_u32_e32 v13, 0x60, v0
	v_add_nc_u32_e32 v14, 0x90, v0
	v_or_b32_e32 v15, 0xc0, v0
	v_add_nc_u32_e32 v20, 0xf0, v0
	v_mad_u64_u32 v[6:7], null, s2, v12, 0
	v_mov_b32_e32 v1, v5
	v_mad_u64_u32 v[8:9], null, s2, v13, 0
	v_mad_u64_u32 v[16:17], null, s2, v15, 0
	;; [unrolled: 1-line block ×3, first 2 shown]
	v_mov_b32_e32 v1, v7
	v_mad_u64_u32 v[18:19], null, s2, v20, 0
	v_mov_b32_e32 v7, v9
	v_add_co_u32 v44, s1, s12, v2
	v_mad_u64_u32 v[11:12], null, s3, v12, v[1:2]
	v_mov_b32_e32 v5, v10
	v_mad_u64_u32 v[9:10], null, s3, v13, v[7:8]
	v_mad_u64_u32 v[12:13], null, s2, v14, 0
	v_lshlrev_b64 v[4:5], 3, v[4:5]
	v_mov_b32_e32 v7, v11
	v_add_co_ci_u32_e64 v45, s1, s13, v3, s1
	v_lshlrev_b64 v[8:9], 3, v[8:9]
	v_add_nc_u32_e32 v24, 0x120, v0
	v_mov_b32_e32 v1, v13
	v_lshlrev_b64 v[6:7], 3, v[6:7]
	v_add_co_u32 v4, s1, v44, v4
	v_add_co_ci_u32_e64 v5, s1, v45, v5, s1
	v_mad_u64_u32 v[10:11], null, s3, v14, v[1:2]
	v_mov_b32_e32 v1, v17
	v_add_co_u32 v6, s1, v44, v6
	v_add_co_ci_u32_e64 v7, s1, v45, v7, s1
	v_add_co_u32 v8, s1, v44, v8
	v_mov_b32_e32 v13, v10
	v_mov_b32_e32 v10, v19
	v_add_co_ci_u32_e64 v9, s1, v45, v9, s1
	v_add_nc_u32_e32 v25, 0x150, v0
	v_lshlrev_b64 v[11:12], 3, v[12:13]
	v_mad_u64_u32 v[13:14], null, s3, v15, v[1:2]
	v_or_b32_e32 v26, 0x180, v0
	v_mad_u64_u32 v[22:23], null, s2, v25, 0
	v_mad_u64_u32 v[14:15], null, s3, v20, v[10:11]
	v_add_co_u32 v20, s1, v44, v11
	v_add_co_ci_u32_e64 v21, s1, v45, v12, s1
	v_mov_b32_e32 v17, v13
	v_mad_u64_u32 v[12:13], null, s2, v24, 0
	v_mov_b32_e32 v19, v14
	s_clause 0x3
	global_load_dwordx2 v[4:5], v[4:5], off
	global_load_dwordx2 v[14:15], v[6:7], off
	;; [unrolled: 1-line block ×4, first 2 shown]
	v_lshlrev_b64 v[8:9], 3, v[16:17]
	v_add_nc_u32_e32 v28, 0x1b0, v0
	v_add_nc_u32_e32 v30, 0x1e0, v0
	v_lshlrev_b64 v[16:17], 3, v[18:19]
	v_mov_b32_e32 v1, v13
	v_mov_b32_e32 v13, v23
	v_add_co_u32 v8, s1, v44, v8
	v_add_co_ci_u32_e64 v9, s1, v45, v9, s1
	v_mad_u64_u32 v[18:19], null, s3, v24, v[1:2]
	v_add_co_u32 v16, s1, v44, v16
	v_add_co_ci_u32_e64 v17, s1, v45, v17, s1
	v_or_b32_e32 v33, 0x240, v0
	v_add_nc_u32_e32 v38, 0x270, v0
	v_add_nc_u32_e32 v41, 0x2a0, v0
	;; [unrolled: 1-line block ×3, first 2 shown]
	v_or_b32_e32 v47, 0x300, v0
	v_mad_u64_u32 v[36:37], null, s2, v41, 0
	s_waitcnt vmcnt(2)
	v_mad_u64_u32 v[19:20], null, s3, v25, v[13:14]
	v_mad_u64_u32 v[20:21], null, s2, v26, 0
	v_mov_b32_e32 v13, v18
	v_mov_b32_e32 v23, v19
	v_lshlrev_b64 v[12:13], 3, v[12:13]
	v_mov_b32_e32 v1, v21
	v_lshlrev_b64 v[18:19], 3, v[22:23]
	v_mad_u64_u32 v[21:22], null, s3, v26, v[1:2]
	v_mad_u64_u32 v[22:23], null, s2, v28, 0
	v_add_co_u32 v12, s1, v44, v12
	v_add_co_ci_u32_e64 v13, s1, v45, v13, s1
	v_mad_u64_u32 v[26:27], null, s2, v30, 0
	v_mov_b32_e32 v1, v23
	v_add_co_u32 v24, s1, v44, v18
	v_add_co_ci_u32_e64 v25, s1, v45, v19, s1
	v_mad_u64_u32 v[28:29], null, s3, v28, v[1:2]
	v_add_nc_u32_e32 v29, 0x210, v0
	s_clause 0x3
	global_load_dwordx2 v[18:19], v[8:9], off
	global_load_dwordx2 v[16:17], v[16:17], off
	;; [unrolled: 1-line block ×4, first 2 shown]
	v_mov_b32_e32 v1, v27
	v_lshlrev_b64 v[20:21], 3, v[20:21]
	v_mad_u64_u32 v[24:25], null, s2, v29, 0
	v_mov_b32_e32 v23, v28
	v_mad_u64_u32 v[27:28], null, s3, v30, v[1:2]
	v_add_co_u32 v20, s1, v44, v20
	v_lshlrev_b64 v[22:23], 3, v[22:23]
	v_mov_b32_e32 v1, v25
	v_add_co_ci_u32_e64 v21, s1, v45, v21, s1
	v_mad_u64_u32 v[28:29], null, s3, v29, v[1:2]
	v_mad_u64_u32 v[29:30], null, s2, v33, 0
	v_add_co_u32 v31, s1, v44, v22
	v_add_co_ci_u32_e64 v32, s1, v45, v23, s1
	v_lshlrev_b64 v[22:23], 3, v[26:27]
	v_mad_u64_u32 v[26:27], null, s2, v38, 0
	v_mov_b32_e32 v25, v28
	v_mov_b32_e32 v1, v30
	v_add_co_u32 v34, s1, v44, v22
	v_add_co_ci_u32_e64 v35, s1, v45, v23, s1
	v_lshlrev_b64 v[22:23], 3, v[24:25]
	v_mad_u64_u32 v[24:25], null, s3, v33, v[1:2]
	v_mov_b32_e32 v1, v27
	v_add_co_u32 v27, s1, v44, v22
	v_mad_u64_u32 v[38:39], null, s3, v38, v[1:2]
	v_mov_b32_e32 v1, v37
	v_mad_u64_u32 v[39:40], null, s2, v46, 0
	v_mov_b32_e32 v30, v24
	v_add_co_ci_u32_e64 v28, s1, v45, v23, s1
	v_mad_u64_u32 v[41:42], null, s3, v41, v[1:2]
	v_mad_u64_u32 v[42:43], null, s2, v47, 0
	v_mov_b32_e32 v1, v40
	s_clause 0x3
	global_load_dwordx2 v[22:23], v[20:21], off
	global_load_dwordx2 v[32:33], v[31:32], off
	;; [unrolled: 1-line block ×4, first 2 shown]
	v_lshlrev_b64 v[28:29], 3, v[29:30]
	v_mov_b32_e32 v27, v38
	v_mov_b32_e32 v37, v41
	v_mad_u64_u32 v[30:31], null, s3, v46, v[1:2]
	v_mov_b32_e32 v1, v43
	v_lshlrev_b64 v[26:27], 3, v[26:27]
	v_add_co_u32 v28, s1, v44, v28
	v_add_co_ci_u32_e64 v29, s1, v45, v29, s1
	v_mad_u64_u32 v[34:35], null, s3, v47, v[1:2]
	v_mov_b32_e32 v40, v30
	v_lshlrev_b64 v[35:36], 3, v[36:37]
	v_add_co_u32 v26, s1, v44, v26
	v_add_co_ci_u32_e64 v27, s1, v45, v27, s1
	v_mov_b32_e32 v43, v34
	v_lshlrev_b64 v[30:31], 3, v[39:40]
	v_add_co_u32 v38, s1, v44, v35
	v_add_co_ci_u32_e64 v39, s1, v45, v36, s1
	v_lshlrev_b64 v[34:35], 3, v[42:43]
	v_add_co_u32 v30, s1, v44, v30
	v_add_co_ci_u32_e64 v31, s1, v45, v31, s1
	v_add_co_u32 v40, s1, v44, v34
	v_add_co_ci_u32_e64 v41, s1, v45, v35, s1
	s_clause 0x4
	global_load_dwordx2 v[34:35], v[28:29], off
	global_load_dwordx2 v[36:37], v[26:27], off
	;; [unrolled: 1-line block ×5, first 2 shown]
.LBB0_11:
	s_or_b32 exec_lo, exec_lo, s4
	s_waitcnt vmcnt(0)
	v_sub_f32_e32 v60, v15, v27
	v_add_f32_e32 v39, v14, v26
	v_sub_f32_e32 v61, v11, v31
	v_add_f32_e32 v41, v10, v30
	v_sub_f32_e32 v59, v7, v29
	v_mul_f32_e32 v40, 0xbeb8f4ab, v60
	v_add_f32_e32 v44, v6, v28
	v_mul_f32_e32 v43, 0xbf2c7751, v61
	v_sub_f32_e32 v58, v19, v37
	v_mul_f32_e32 v46, 0xbf65296c, v59
	v_fma_f32 v1, 0x3f6eb680, v39, -v40
	v_add_f32_e32 v47, v18, v36
	v_fma_f32 v38, 0x3f3d2fb0, v41, -v43
	v_sub_f32_e32 v57, v17, v35
	v_mul_f32_e32 v52, 0xbf7ee86f, v58
	v_add_f32_e32 v1, v4, v1
	v_fma_f32 v42, 0x3ee437d1, v44, -v46
	v_add_f32_e32 v48, v16, v34
	v_sub_f32_e32 v56, v13, v25
	v_mul_f32_e32 v53, 0xbf763a35, v57
	v_add_f32_e32 v1, v1, v38
	v_fma_f32 v38, 0x3dbcf732, v47, -v52
	v_add_f32_e32 v45, v12, v24
	;; [unrolled: 5-line block ×3, first 2 shown]
	v_mul_f32_e32 v42, 0xbf06c442, v55
	v_fma_f32 v51, 0xbf1a4643, v45, -v49
	v_add_f32_e32 v1, v1, v38
	v_sub_f32_e32 v38, v23, v33
	v_fma_f32 v62, 0xbf59a7d5, v54, -v42
	v_add_f32_e32 v1, v50, v1
	v_add_f32_e32 v50, v22, v32
	;; [unrolled: 1-line block ×3, first 2 shown]
	v_mul_f32_e32 v51, 0xbe3c28d5, v38
	v_add_f32_e32 v1, v62, v1
	v_fma_f32 v62, 0xbf7ba420, v50, -v51
	v_add_f32_e32 v1, v1, v62
	s_and_saveexec_b32 s1, s0
	s_cbranch_execz .LBB0_13
; %bb.12:
	v_mul_f32_e32 v62, 0xbf7ba420, v39
	v_mul_f32_e32 v63, 0x3f6eb680, v41
	v_mul_f32_e32 v67, 0xbf59a7d5, v44
	v_mul_f32_e32 v69, 0x3f3d2fb0, v47
	v_mul_f32_e32 v64, 0xbf59a7d5, v39
	v_fmamk_f32 v66, v60, 0x3e3c28d5, v62
	v_fmac_f32_e32 v62, 0xbe3c28d5, v60
	v_fmamk_f32 v68, v61, 0xbeb8f4ab, v63
	v_fmac_f32_e32 v63, 0x3eb8f4ab, v61
	v_fmamk_f32 v70, v59, 0x3f06c442, v67
	v_add_f32_e32 v66, v4, v66
	v_add_f32_e32 v62, v4, v62
	v_fmac_f32_e32 v67, 0xbf06c442, v59
	v_mul_f32_e32 v65, 0x3ee437d1, v41
	v_mul_f32_e32 v71, 0x3dbcf732, v44
	v_add_f32_e32 v66, v66, v68
	v_add_f32_e32 v62, v62, v63
	v_mul_f32_e32 v63, 0xbf1a4643, v48
	v_fmamk_f32 v68, v58, 0xbf2c7751, v69
	v_fmac_f32_e32 v69, 0x3f2c7751, v58
	v_add_f32_e32 v66, v70, v66
	v_add_f32_e32 v62, v67, v62
	v_fmamk_f32 v67, v60, 0x3f06c442, v64
	v_fmamk_f32 v70, v57, 0x3f4c4adb, v63
	v_fmac_f32_e32 v63, 0xbf4c4adb, v57
	v_add_f32_e32 v66, v66, v68
	v_add_f32_e32 v62, v62, v69
	v_mul_f32_e32 v68, 0x3ee437d1, v45
	v_fmamk_f32 v69, v61, 0xbf65296c, v65
	v_add_f32_e32 v67, v4, v67
	v_add_f32_e32 v66, v70, v66
	;; [unrolled: 1-line block ×3, first 2 shown]
	v_fmamk_f32 v63, v56, 0xbf65296c, v68
	v_fmac_f32_e32 v68, 0x3f65296c, v56
	v_mul_f32_e32 v70, 0xbe8c1d8e, v54
	v_add_f32_e32 v67, v67, v69
	v_mul_f32_e32 v69, 0xbf1a4643, v47
	v_fmac_f32_e32 v64, 0xbf06c442, v60
	v_add_f32_e32 v62, v62, v68
	v_fmamk_f32 v68, v59, 0x3f7ee86f, v71
	v_add_f32_e32 v63, v66, v63
	v_fmamk_f32 v66, v55, 0x3f763a35, v70
	v_mul_f32_e32 v73, 0x3f6eb680, v48
	v_add_f32_e32 v64, v4, v64
	v_add_f32_e32 v67, v68, v67
	v_fmamk_f32 v68, v58, 0xbf4c4adb, v69
	v_fmac_f32_e32 v65, 0x3f65296c, v61
	v_add_f32_e32 v63, v66, v63
	v_fmac_f32_e32 v71, 0xbf7ee86f, v59
	v_fmac_f32_e32 v70, 0xbf763a35, v55
	v_add_f32_e32 v66, v67, v68
	v_fmamk_f32 v67, v57, 0x3eb8f4ab, v73
	v_mul_f32_e32 v68, 0xbf7ba420, v45
	v_add_f32_e32 v64, v64, v65
	v_mul_f32_e32 v72, 0x3dbcf732, v50
	v_fmac_f32_e32 v69, 0x3f4c4adb, v58
	v_add_f32_e32 v65, v67, v66
	v_fmamk_f32 v66, v56, 0x3e3c28d5, v68
	v_mul_f32_e32 v67, 0x3f3d2fb0, v54
	v_add_f32_e32 v64, v71, v64
	v_mul_f32_e32 v71, 0xbf1a4643, v39
	v_add_f32_e32 v62, v70, v62
	v_fmamk_f32 v70, v38, 0xbf7ee86f, v72
	v_add_f32_e32 v65, v65, v66
	v_fmamk_f32 v66, v55, 0xbf2c7751, v67
	;; [unrolled: 2-line block ×3, first 2 shown]
	v_mul_f32_e32 v74, 0xbe8c1d8e, v41
	v_fmac_f32_e32 v73, 0xbeb8f4ab, v57
	v_add_f32_e32 v63, v63, v70
	v_add_f32_e32 v65, v66, v65
	;; [unrolled: 1-line block ×3, first 2 shown]
	v_fmamk_f32 v69, v61, 0xbf763a35, v74
	v_mul_f32_e32 v70, 0x3f6eb680, v44
	v_add_f32_e32 v64, v73, v64
	v_fmac_f32_e32 v68, 0xbe3c28d5, v56
	v_mul_f32_e32 v73, 0xbe8c1d8e, v50
	v_add_f32_e32 v66, v66, v69
	v_fmamk_f32 v69, v59, 0x3eb8f4ab, v70
	v_mul_f32_e32 v75, 0xbf59a7d5, v47
	v_add_f32_e32 v64, v64, v68
	v_fmamk_f32 v68, v38, 0x3f763a35, v73
	;; [unrolled: 3-line block ×3, first 2 shown]
	v_fmac_f32_e32 v67, 0x3f2c7751, v55
	v_fmac_f32_e32 v71, 0xbf4c4adb, v60
	v_add_f32_e32 v65, v65, v68
	v_fmamk_f32 v68, v57, 0xbf7ee86f, v76
	v_add_f32_e32 v66, v66, v69
	v_mul_f32_e32 v69, 0x3f3d2fb0, v45
	v_fmac_f32_e32 v72, 0x3f7ee86f, v38
	v_add_f32_e32 v71, v4, v71
	v_fmac_f32_e32 v74, 0x3f763a35, v61
	v_add_f32_e32 v64, v67, v64
	v_add_f32_e32 v66, v68, v66
	v_fmamk_f32 v67, v56, 0x3f2c7751, v69
	v_mul_f32_e32 v68, 0xbf7ba420, v54
	v_add_f32_e32 v62, v62, v72
	v_add_f32_e32 v71, v71, v74
	v_fmac_f32_e32 v70, 0xbeb8f4ab, v59
	v_add_f32_e32 v66, v66, v67
	v_fmamk_f32 v67, v55, 0x3e3c28d5, v68
	v_mul_f32_e32 v72, 0xbe8c1d8e, v39
	v_fmac_f32_e32 v75, 0xbf06c442, v58
	v_add_f32_e32 v70, v70, v71
	v_mul_f32_e32 v71, 0xbf59a7d5, v41
	v_add_f32_e32 v66, v67, v66
	v_fmamk_f32 v67, v60, 0x3f763a35, v72
	v_fmac_f32_e32 v76, 0x3f7ee86f, v57
	v_add_f32_e32 v70, v70, v75
	v_fmamk_f32 v74, v61, 0xbf06c442, v71
	v_mul_f32_e32 v75, 0x3f3d2fb0, v44
	v_add_f32_e32 v67, v4, v67
	v_fmac_f32_e32 v73, 0xbf763a35, v38
	v_add_f32_e32 v70, v76, v70
	v_fmac_f32_e32 v69, 0xbf2c7751, v56
	v_mul_f32_e32 v77, 0x3ee437d1, v47
	v_add_f32_e32 v67, v67, v74
	v_fmamk_f32 v74, v59, 0xbf2c7751, v75
	v_add_f32_e32 v64, v64, v73
	v_mul_f32_e32 v73, 0x3ee437d1, v50
	v_add_f32_e32 v69, v70, v69
	v_fmac_f32_e32 v68, 0xbe3c28d5, v55
	v_add_f32_e32 v67, v74, v67
	v_fmamk_f32 v70, v58, 0x3f65296c, v77
	v_mul_f32_e32 v74, 0xbf7ba420, v48
	v_fmamk_f32 v76, v38, 0xbf65296c, v73
	v_add_f32_e32 v68, v68, v69
	v_fmac_f32_e32 v73, 0x3f65296c, v38
	v_fmac_f32_e32 v72, 0xbf763a35, v60
	v_add_f32_e32 v67, v67, v70
	v_fmamk_f32 v69, v57, 0x3e3c28d5, v74
	v_mul_f32_e32 v70, 0x3dbcf732, v45
	v_add_f32_e32 v66, v66, v76
	v_add_f32_e32 v68, v68, v73
	;; [unrolled: 1-line block ×3, first 2 shown]
	v_fmac_f32_e32 v71, 0x3f06c442, v61
	v_add_f32_e32 v67, v69, v67
	v_fmamk_f32 v69, v56, 0xbf7ee86f, v70
	v_mul_f32_e32 v73, 0x3f6eb680, v54
	v_mul_f32_e32 v76, 0x3dbcf732, v39
	v_add_f32_e32 v71, v72, v71
	v_fmac_f32_e32 v75, 0x3f2c7751, v59
	v_add_f32_e32 v67, v67, v69
	v_fmamk_f32 v69, v55, 0x3eb8f4ab, v73
	v_fmamk_f32 v72, v60, 0x3f7ee86f, v76
	v_mul_f32_e32 v78, 0xbf7ba420, v41
	v_add_f32_e32 v71, v75, v71
	v_fmac_f32_e32 v77, 0xbf65296c, v58
	v_add_f32_e32 v67, v69, v67
	v_add_f32_e32 v69, v4, v72
	v_fmamk_f32 v72, v61, 0x3e3c28d5, v78
	v_mul_f32_e32 v75, 0xbe8c1d8e, v44
	v_add_f32_e32 v71, v71, v77
	v_fmac_f32_e32 v74, 0xbe3c28d5, v57
	v_mul_f32_e32 v79, 0x3f6eb680, v47
	v_add_f32_e32 v69, v69, v72
	v_fmamk_f32 v72, v59, 0xbf763a35, v75
	v_fmac_f32_e32 v70, 0x3f7ee86f, v56
	v_add_f32_e32 v71, v74, v71
	v_mul_f32_e32 v80, 0x3ee437d1, v48
	v_mul_f32_e32 v77, 0xbf1a4643, v50
	v_add_f32_e32 v69, v72, v69
	v_fmamk_f32 v72, v58, 0xbeb8f4ab, v79
	v_add_f32_e32 v70, v71, v70
	v_fmac_f32_e32 v73, 0xbeb8f4ab, v55
	v_fmamk_f32 v71, v57, 0x3f65296c, v80
	v_fmamk_f32 v74, v38, 0x3f4c4adb, v77
	v_add_f32_e32 v69, v69, v72
	v_mul_f32_e32 v72, 0xbf59a7d5, v45
	v_add_f32_e32 v70, v73, v70
	v_fmac_f32_e32 v76, 0xbf7ee86f, v60
	v_mul_f32_e32 v73, 0x3ee437d1, v39
	v_add_f32_e32 v69, v71, v69
	v_fmamk_f32 v71, v56, 0x3f06c442, v72
	v_add_f32_e32 v67, v67, v74
	v_add_f32_e32 v74, v4, v76
	v_fmac_f32_e32 v78, 0xbe3c28d5, v61
	v_mul_f32_e32 v76, 0xbf1a4643, v41
	v_add_f32_e32 v69, v69, v71
	v_fmamk_f32 v71, v60, 0x3f65296c, v73
	v_fmac_f32_e32 v75, 0x3f763a35, v59
	v_add_f32_e32 v74, v74, v78
	v_fmamk_f32 v78, v61, 0x3f4c4adb, v76
	v_mul_f32_e32 v81, 0xbf7ba420, v44
	v_add_f32_e32 v71, v4, v71
	v_fmac_f32_e32 v77, 0xbf4c4adb, v38
	v_add_f32_e32 v74, v75, v74
	v_fmac_f32_e32 v79, 0x3eb8f4ab, v58
	v_fmamk_f32 v75, v59, 0xbe3c28d5, v81
	v_add_f32_e32 v71, v71, v78
	v_mul_f32_e32 v78, 0xbe8c1d8e, v47
	v_add_f32_e32 v70, v70, v77
	v_mul_f32_e32 v77, 0xbf1a4643, v54
	v_add_f32_e32 v74, v74, v79
	v_fmac_f32_e32 v80, 0xbf65296c, v57
	v_add_f32_e32 v71, v75, v71
	v_fmamk_f32 v75, v58, 0xbf763a35, v78
	v_mul_f32_e32 v79, 0x3f3d2fb0, v48
	v_fmamk_f32 v82, v55, 0xbf4c4adb, v77
	v_add_f32_e32 v74, v80, v74
	v_fmac_f32_e32 v72, 0xbf06c442, v56
	v_add_f32_e32 v71, v71, v75
	v_fmamk_f32 v75, v57, 0xbf2c7751, v79
	v_mul_f32_e32 v80, 0x3f6eb680, v45
	v_add_f32_e32 v69, v82, v69
	v_mul_f32_e32 v82, 0x3f3d2fb0, v50
	v_add_f32_e32 v72, v74, v72
	v_add_f32_e32 v71, v75, v71
	v_fmamk_f32 v74, v56, 0x3eb8f4ab, v80
	v_fmac_f32_e32 v73, 0xbf65296c, v60
	v_fmamk_f32 v83, v38, 0xbf2c7751, v82
	v_fmac_f32_e32 v76, 0xbf4c4adb, v61
	v_fmac_f32_e32 v77, 0x3f4c4adb, v55
	v_add_f32_e32 v71, v71, v74
	v_mul_f32_e32 v74, 0x3f3d2fb0, v39
	v_add_f32_e32 v73, v4, v73
	v_add_f32_e32 v69, v69, v83
	v_mul_f32_e32 v75, 0x3dbcf732, v54
	v_mul_f32_e32 v83, 0x3dbcf732, v41
	v_fmamk_f32 v84, v60, 0x3f2c7751, v74
	v_fmac_f32_e32 v74, 0xbf2c7751, v60
	v_add_f32_e32 v60, v73, v76
	v_fmac_f32_e32 v81, 0x3e3c28d5, v59
	v_add_f32_e32 v72, v77, v72
	v_fmamk_f32 v77, v55, 0x3f7ee86f, v75
	v_fmamk_f32 v73, v61, 0x3f7ee86f, v83
	v_fmac_f32_e32 v83, 0xbf7ee86f, v61
	v_add_f32_e32 v61, v4, v74
	v_mul_f32_e32 v74, 0xbf1a4643, v44
	v_add_f32_e32 v60, v81, v60
	v_fmac_f32_e32 v78, 0x3f763a35, v58
	v_add_f32_e32 v71, v77, v71
	v_add_f32_e32 v77, v4, v84
	v_fmamk_f32 v76, v59, 0x3f4c4adb, v74
	v_fmac_f32_e32 v74, 0xbf4c4adb, v59
	v_add_f32_e32 v59, v60, v78
	v_add_f32_e32 v78, v4, v14
	v_add_f32_e32 v73, v77, v73
	v_add_f32_e32 v61, v61, v83
	v_mul_f32_e32 v60, 0xbf7ba420, v47
	v_mul_f32_e32 v39, 0x3f6eb680, v39
	v_add_f32_e32 v77, v78, v10
	v_add_f32_e32 v73, v76, v73
	;; [unrolled: 1-line block ×3, first 2 shown]
	v_fmamk_f32 v74, v58, 0x3e3c28d5, v60
	v_fmac_f32_e32 v60, 0xbe3c28d5, v58
	v_add_f32_e32 v76, v77, v6
	v_mul_f32_e32 v58, 0xbf59a7d5, v48
	v_fmac_f32_e32 v79, 0x3f2c7751, v57
	v_mul_f32_e32 v41, 0x3f3d2fb0, v41
	v_add_f32_e32 v60, v61, v60
	v_add_f32_e32 v76, v76, v18
	v_fmamk_f32 v61, v57, 0xbf06c442, v58
	v_fmac_f32_e32 v58, 0x3f06c442, v57
	v_add_f32_e32 v39, v40, v39
	v_add_f32_e32 v41, v43, v41
	;; [unrolled: 1-line block ×4, first 2 shown]
	v_fmac_f32_e32 v80, 0xbeb8f4ab, v56
	v_add_f32_e32 v4, v4, v39
	v_mul_f32_e32 v39, 0x3ee437d1, v44
	v_add_f32_e32 v43, v57, v12
	v_mul_f32_e32 v44, 0xbe8c1d8e, v45
	v_add_f32_e32 v57, v58, v60
	v_add_f32_e32 v4, v4, v41
	;; [unrolled: 1-line block ×4, first 2 shown]
	v_mul_f32_e32 v46, 0x3dbcf732, v47
	v_mul_f32_e32 v47, 0xbe8c1d8e, v48
	v_fmamk_f32 v43, v56, 0xbf763a35, v44
	v_add_f32_e32 v4, v39, v4
	v_add_f32_e32 v41, v41, v22
	v_add_f32_e32 v39, v52, v46
	v_fmac_f32_e32 v44, 0x3f763a35, v56
	v_mul_f32_e32 v48, 0x3ee437d1, v54
	v_mul_f32_e32 v45, 0xbf1a4643, v45
	v_add_f32_e32 v41, v41, v32
	v_add_f32_e32 v4, v4, v39
	;; [unrolled: 1-line block ×7, first 2 shown]
	v_fmamk_f32 v52, v55, 0xbf65296c, v48
	v_fmac_f32_e32 v48, 0x3f65296c, v55
	v_add_f32_e32 v46, v61, v59
	v_add_f32_e32 v39, v24, v39
	;; [unrolled: 1-line block ×4, first 2 shown]
	v_mul_f32_e32 v45, 0xbf59a7d5, v54
	v_fmac_f32_e32 v75, 0xbf7ee86f, v55
	v_add_f32_e32 v39, v34, v39
	v_mul_f32_e32 v47, 0xbf59a7d5, v50
	v_add_f32_e32 v4, v4, v41
	v_add_f32_e32 v41, v42, v45
	;; [unrolled: 1-line block ×4, first 2 shown]
	v_mul_f32_e32 v44, 0xbf7ba420, v50
	v_mul_f32_e32 v45, 0x3f6eb680, v50
	v_add_f32_e32 v43, v46, v43
	v_add_f32_e32 v4, v41, v4
	;; [unrolled: 1-line block ×5, first 2 shown]
	v_fmamk_f32 v53, v38, 0x3f06c442, v47
	v_fmac_f32_e32 v47, 0xbf06c442, v38
	v_add_f32_e32 v39, v30, v39
	v_fmamk_f32 v44, v38, 0xbeb8f4ab, v45
	v_fmac_f32_e32 v45, 0x3eb8f4ab, v38
	v_fmac_f32_e32 v82, 0x3f2c7751, v38
	v_add_f32_e32 v38, v52, v43
	v_add_f32_e32 v4, v4, v41
	;; [unrolled: 1-line block ×3, first 2 shown]
	v_mad_u32_u24 v41, 0x44, v0, 0
	v_add_f32_e32 v40, v40, v47
	v_add_f32_e32 v42, v42, v45
	v_add_f32_e32 v43, v72, v82
	v_add_f32_e32 v45, v71, v53
	v_add_f32_e32 v38, v38, v44
	ds_write2_b32 v41, v39, v4 offset1:1
	ds_write2_b32 v41, v42, v40 offset0:2 offset1:3
	ds_write2_b32 v41, v43, v70 offset0:4 offset1:5
	;; [unrolled: 1-line block ×7, first 2 shown]
	ds_write_b32 v41, v1 offset:64
.LBB0_13:
	s_or_b32 exec_lo, exec_lo, s1
	v_sub_f32_e32 v64, v14, v26
	v_add_f32_e32 v61, v15, v27
	v_sub_f32_e32 v59, v10, v30
	v_add_f32_e32 v58, v11, v31
	v_sub_f32_e32 v56, v6, v28
	v_mul_f32_e32 v63, 0xbeb8f4ab, v64
	v_add_f32_e32 v55, v7, v29
	v_mul_f32_e32 v62, 0xbf2c7751, v59
	v_sub_f32_e32 v36, v18, v36
	v_mul_f32_e32 v60, 0xbf65296c, v56
	v_fmamk_f32 v4, v61, 0x3f6eb680, v63
	v_add_f32_e32 v54, v19, v37
	v_fmamk_f32 v6, v58, 0x3f3d2fb0, v62
	v_sub_f32_e32 v28, v16, v34
	v_mul_f32_e32 v57, 0xbf7ee86f, v36
	v_add_f32_e32 v4, v5, v4
	v_fmamk_f32 v14, v55, 0x3ee437d1, v60
	v_add_f32_e32 v26, v17, v35
	v_sub_f32_e32 v18, v12, v24
	v_sub_f32_e32 v12, v8, v20
	v_add_f32_e32 v4, v4, v6
	v_mul_f32_e32 v34, 0xbf763a35, v28
	v_fmamk_f32 v6, v54, 0x3dbcf732, v57
	v_lshl_add_u32 v66, v0, 2, 0
	v_add_f32_e32 v16, v13, v25
	v_add_f32_e32 v8, v14, v4
	v_fmamk_f32 v14, v26, 0xbe8c1d8e, v34
	v_sub_f32_e32 v4, v22, v32
	v_add_nc_u32_e32 v20, 0x400, v66
	v_add_nc_u32_e32 v22, 0x800, v66
	v_add_f32_e32 v6, v8, v6
	s_waitcnt lgkmcnt(0)
	v_mul_f32_e32 v30, 0xbf4c4adb, v18
	s_barrier
	buffer_gl0_inv
	v_add_f32_e32 v14, v14, v6
	v_add_nc_u32_e32 v6, 0x600, v66
	ds_read2_b32 v[46:47], v66 offset1:51
	ds_read2_b32 v[44:45], v20 offset0:152 offset1:203
	ds_read2_b32 v[48:49], v66 offset0:102 offset1:153
	;; [unrolled: 1-line block ×7, first 2 shown]
	v_add_f32_e32 v10, v9, v21
	v_mul_f32_e32 v24, 0xbf06c442, v12
	v_fmamk_f32 v8, v16, 0xbf1a4643, v30
	s_waitcnt lgkmcnt(0)
	s_barrier
	buffer_gl0_inv
	v_fmamk_f32 v65, v10, 0xbf59a7d5, v24
	v_add_f32_e32 v32, v14, v8
	v_add_f32_e32 v8, v23, v33
	v_mul_f32_e32 v14, 0xbe3c28d5, v4
	v_add_f32_e32 v32, v65, v32
	v_fmamk_f32 v65, v8, 0xbf7ba420, v14
	v_add_f32_e32 v74, v32, v65
	s_and_saveexec_b32 s1, s0
	s_cbranch_execz .LBB0_15
; %bb.14:
	v_add_f32_e32 v15, v5, v15
	v_mul_f32_e32 v32, 0x3f6eb680, v61
	v_mul_f32_e32 v72, 0xbf65296c, v64
	;; [unrolled: 1-line block ×4, first 2 shown]
	v_add_f32_e32 v15, v15, v11
	v_sub_f32_e32 v32, v32, v63
	v_fma_f32 v63, 0x3ee437d1, v61, -v72
	v_fmac_f32_e32 v72, 0x3ee437d1, v61
	v_fma_f32 v80, 0xbe8c1d8e, v61, -v75
	v_add_f32_e32 v7, v15, v7
	v_mul_f32_e32 v15, 0xbf2c7751, v64
	v_mul_f32_e32 v73, 0xbf7ee86f, v64
	;; [unrolled: 1-line block ×4, first 2 shown]
	v_add_f32_e32 v7, v7, v19
	v_mul_f32_e32 v19, 0xbf4c4adb, v64
	v_mul_f32_e32 v64, 0xbe3c28d5, v64
	;; [unrolled: 1-line block ×4, first 2 shown]
	v_add_f32_e32 v7, v7, v17
	v_mul_f32_e32 v17, 0xbf4c4adb, v59
	v_fmac_f32_e32 v75, 0xbe8c1d8e, v61
	v_fma_f32 v81, 0xbf59a7d5, v61, -v76
	v_fmac_f32_e32 v76, 0xbf59a7d5, v61
	v_add_f32_e32 v7, v7, v13
	v_fma_f32 v13, 0x3f3d2fb0, v61, -v15
	v_fmac_f32_e32 v15, 0x3f3d2fb0, v61
	v_mul_f32_e32 v67, 0x3ee437d1, v55
	v_mul_f32_e32 v68, 0x3dbcf732, v54
	v_add_f32_e32 v7, v7, v9
	v_fma_f32 v9, 0x3dbcf732, v61, -v73
	v_fmac_f32_e32 v73, 0x3dbcf732, v61
	v_add_f32_e32 v13, v5, v13
	v_add_f32_e32 v15, v5, v15
	v_add_f32_e32 v7, v7, v23
	v_fma_f32 v23, 0xbf1a4643, v61, -v19
	v_fmac_f32_e32 v19, 0xbf1a4643, v61
	v_add_f32_e32 v9, v5, v9
	v_mul_f32_e32 v69, 0xbe8c1d8e, v26
	v_add_f32_e32 v7, v7, v33
	v_fma_f32 v33, 0xbf7ba420, v61, -v64
	v_fmac_f32_e32 v64, 0xbf7ba420, v61
	v_add_f32_e32 v23, v5, v23
	v_add_f32_e32 v19, v5, v19
	;; [unrolled: 1-line block ×3, first 2 shown]
	v_fma_f32 v21, 0xbf1a4643, v58, -v17
	v_fmac_f32_e32 v17, 0xbf1a4643, v58
	v_sub_f32_e32 v61, v65, v62
	v_fma_f32 v62, 0x3dbcf732, v58, -v77
	v_add_f32_e32 v7, v25, v7
	v_fmac_f32_e32 v77, 0x3dbcf732, v58
	v_add_f32_e32 v25, v5, v32
	v_add_f32_e32 v32, v5, v63
	;; [unrolled: 1-line block ×11, first 2 shown]
	v_mul_f32_e32 v35, 0x3f65296c, v59
	v_fma_f32 v65, 0xbf7ba420, v58, -v78
	v_add_f32_e32 v7, v29, v7
	v_add_f32_e32 v29, v5, v81
	;; [unrolled: 1-line block ×3, first 2 shown]
	v_fmac_f32_e32 v78, 0xbf7ba420, v58
	v_add_f32_e32 v25, v25, v61
	v_add_f32_e32 v7, v31, v7
	v_mul_f32_e32 v31, 0x3f763a35, v59
	v_mul_f32_e32 v59, 0x3eb8f4ab, v59
	v_add_f32_e32 v13, v13, v62
	v_add_f32_e32 v15, v15, v77
	;; [unrolled: 1-line block ×3, first 2 shown]
	v_fma_f32 v27, 0xbf59a7d5, v58, -v79
	v_fmac_f32_e32 v79, 0xbf59a7d5, v58
	v_fma_f32 v62, 0x3ee437d1, v58, -v35
	v_fmac_f32_e32 v35, 0x3ee437d1, v58
	v_add_f32_e32 v21, v32, v21
	v_add_f32_e32 v27, v37, v27
	v_fma_f32 v37, 0xbe8c1d8e, v58, -v31
	v_fmac_f32_e32 v31, 0xbe8c1d8e, v58
	v_add_f32_e32 v32, v63, v78
	v_add_f32_e32 v9, v9, v65
	;; [unrolled: 1-line block ×5, first 2 shown]
	v_fma_f32 v31, 0x3f6eb680, v58, -v59
	v_mul_f32_e32 v37, 0xbf4c4adb, v56
	v_fmac_f32_e32 v59, 0x3f6eb680, v58
	v_add_f32_e32 v61, v72, v79
	v_sub_f32_e32 v34, v69, v34
	v_add_f32_e32 v31, v33, v31
	v_sub_f32_e32 v33, v67, v60
	v_fma_f32 v58, 0xbf1a4643, v55, -v37
	v_add_f32_e32 v5, v5, v59
	v_mul_f32_e32 v59, 0x3e3c28d5, v56
	v_fmac_f32_e32 v37, 0xbf1a4643, v55
	v_add_f32_e32 v25, v33, v25
	v_add_f32_e32 v13, v58, v13
	v_mul_f32_e32 v33, 0x3f763a35, v56
	v_fma_f32 v58, 0xbf7ba420, v55, -v59
	v_add_f32_e32 v15, v37, v15
	v_fmac_f32_e32 v59, 0xbf7ba420, v55
	v_mul_f32_e32 v37, 0x3f2c7751, v56
	v_fma_f32 v60, 0xbe8c1d8e, v55, -v33
	v_add_f32_e32 v21, v58, v21
	v_fmac_f32_e32 v33, 0xbe8c1d8e, v55
	v_add_f32_e32 v17, v59, v17
	v_fma_f32 v58, 0x3f3d2fb0, v55, -v37
	v_mul_f32_e32 v59, 0xbeb8f4ab, v56
	v_add_f32_e32 v9, v60, v9
	v_add_f32_e32 v32, v33, v32
	v_mul_f32_e32 v33, 0xbf7ee86f, v56
	v_add_f32_e32 v27, v58, v27
	v_fma_f32 v58, 0x3f6eb680, v55, -v59
	v_fmac_f32_e32 v59, 0x3f6eb680, v55
	v_mul_f32_e32 v56, 0xbf06c442, v56
	v_fma_f32 v60, 0x3dbcf732, v55, -v33
	v_fmac_f32_e32 v33, 0x3dbcf732, v55
	v_add_f32_e32 v23, v58, v23
	v_add_f32_e32 v19, v59, v19
	v_fma_f32 v58, 0xbf59a7d5, v55, -v56
	v_mul_f32_e32 v59, 0xbe3c28d5, v36
	v_fmac_f32_e32 v56, 0xbf59a7d5, v55
	v_fmac_f32_e32 v37, 0x3f3d2fb0, v55
	v_add_f32_e32 v33, v33, v35
	v_sub_f32_e32 v35, v68, v57
	v_fma_f32 v55, 0xbf7ba420, v54, -v59
	v_add_f32_e32 v5, v56, v5
	v_mul_f32_e32 v56, 0x3f763a35, v36
	v_mul_f32_e32 v57, 0xbf65296c, v36
	v_add_f32_e32 v25, v25, v35
	v_add_f32_e32 v13, v13, v55
	v_mul_f32_e32 v35, 0x3eb8f4ab, v36
	v_fma_f32 v55, 0xbe8c1d8e, v54, -v56
	v_fmac_f32_e32 v56, 0xbe8c1d8e, v54
	v_add_f32_e32 v31, v58, v31
	v_add_f32_e32 v37, v37, v61
	v_fma_f32 v58, 0x3f6eb680, v54, -v35
	v_add_f32_e32 v21, v21, v55
	v_fmac_f32_e32 v35, 0x3f6eb680, v54
	v_add_f32_e32 v17, v17, v56
	v_fma_f32 v55, 0x3ee437d1, v54, -v57
	v_mul_f32_e32 v56, 0xbf06c442, v36
	v_fmac_f32_e32 v57, 0x3ee437d1, v54
	v_add_f32_e32 v32, v32, v35
	v_mul_f32_e32 v35, 0x3f4c4adb, v36
	v_add_f32_e32 v27, v27, v55
	v_fma_f32 v55, 0xbf59a7d5, v54, -v56
	v_fmac_f32_e32 v56, 0xbf59a7d5, v54
	v_mul_f32_e32 v36, 0x3f2c7751, v36
	v_add_f32_e32 v37, v37, v57
	v_fma_f32 v57, 0xbf1a4643, v54, -v35
	v_add_f32_e32 v23, v23, v55
	v_add_f32_e32 v19, v19, v56
	v_fmac_f32_e32 v35, 0xbf1a4643, v54
	v_fma_f32 v55, 0x3f3d2fb0, v54, -v36
	v_mul_f32_e32 v56, 0x3f06c442, v28
	v_fmac_f32_e32 v36, 0x3f3d2fb0, v54
	v_fmac_f32_e32 v59, 0xbf7ba420, v54
	v_add_f32_e32 v33, v33, v35
	v_add_f32_e32 v25, v34, v25
	v_fma_f32 v35, 0xbf59a7d5, v26, -v56
	v_add_f32_e32 v5, v5, v36
	v_mul_f32_e32 v36, 0x3f2c7751, v28
	v_mul_f32_e32 v34, 0xbf65296c, v28
	;; [unrolled: 1-line block ×3, first 2 shown]
	v_add_f32_e32 v13, v35, v13
	v_add_f32_e32 v31, v31, v55
	v_fma_f32 v35, 0x3f3d2fb0, v26, -v36
	v_fmac_f32_e32 v36, 0x3f3d2fb0, v26
	v_fma_f32 v55, 0x3ee437d1, v26, -v34
	v_fmac_f32_e32 v34, 0x3ee437d1, v26
	v_mul_f32_e32 v70, 0xbf1a4643, v16
	v_add_f32_e32 v21, v35, v21
	v_add_f32_e32 v17, v36, v17
	v_fma_f32 v35, 0xbf7ba420, v26, -v54
	v_mul_f32_e32 v36, 0x3f7ee86f, v28
	v_add_f32_e32 v32, v34, v32
	v_fmac_f32_e32 v54, 0xbf7ba420, v26
	v_mul_f32_e32 v34, 0xbeb8f4ab, v28
	v_add_f32_e32 v27, v35, v27
	v_fma_f32 v35, 0x3dbcf732, v26, -v36
	v_mul_f32_e32 v28, 0xbf4c4adb, v28
	v_add_f32_e32 v15, v15, v59
	v_fmac_f32_e32 v56, 0xbf59a7d5, v26
	v_fmac_f32_e32 v36, 0x3dbcf732, v26
	v_add_f32_e32 v37, v54, v37
	v_fma_f32 v54, 0x3f6eb680, v26, -v34
	v_add_f32_e32 v23, v35, v23
	v_fmac_f32_e32 v34, 0x3f6eb680, v26
	v_fma_f32 v35, 0xbf1a4643, v26, -v28
	v_fmac_f32_e32 v28, 0xbf1a4643, v26
	v_mul_f32_e32 v26, 0x3f763a35, v18
	v_sub_f32_e32 v30, v70, v30
	v_add_f32_e32 v29, v29, v62
	v_add_f32_e32 v9, v9, v58
	v_add_f32_e32 v15, v56, v15
	v_add_f32_e32 v33, v34, v33
	v_add_f32_e32 v5, v28, v5
	v_fma_f32 v28, 0xbe8c1d8e, v16, -v26
	v_mul_f32_e32 v34, 0xbeb8f4ab, v18
	v_fmac_f32_e32 v26, 0xbe8c1d8e, v16
	v_add_f32_e32 v25, v25, v30
	v_mul_f32_e32 v30, 0xbf06c442, v18
	v_add_f32_e32 v29, v60, v29
	v_add_f32_e32 v9, v55, v9
	;; [unrolled: 1-line block ×4, first 2 shown]
	v_fma_f32 v28, 0x3f6eb680, v16, -v34
	v_add_f32_e32 v15, v15, v26
	v_fma_f32 v26, 0xbf59a7d5, v16, -v30
	v_mul_f32_e32 v35, 0x3f7ee86f, v18
	v_fmac_f32_e32 v30, 0xbf59a7d5, v16
	v_add_f32_e32 v29, v29, v57
	v_fmac_f32_e32 v34, 0x3f6eb680, v16
	v_add_f32_e32 v21, v21, v28
	v_add_f32_e32 v9, v9, v26
	v_fma_f32 v26, 0x3dbcf732, v16, -v35
	v_mul_f32_e32 v28, 0xbf2c7751, v18
	v_add_f32_e32 v30, v32, v30
	v_fmac_f32_e32 v35, 0x3dbcf732, v16
	v_mul_f32_e32 v32, 0xbe3c28d5, v18
	v_add_f32_e32 v19, v36, v19
	v_add_f32_e32 v29, v54, v29
	;; [unrolled: 1-line block ×4, first 2 shown]
	v_fma_f32 v27, 0x3f3d2fb0, v16, -v28
	v_fmac_f32_e32 v28, 0x3f3d2fb0, v16
	v_add_f32_e32 v34, v37, v35
	v_fma_f32 v35, 0xbf7ba420, v16, -v32
	v_mul_f32_e32 v18, 0x3f65296c, v18
	v_mul_f32_e32 v71, 0xbf59a7d5, v10
	v_add_f32_e32 v23, v23, v27
	v_add_f32_e32 v19, v19, v28
	v_add_f32_e32 v27, v29, v35
	v_fma_f32 v28, 0x3ee437d1, v16, -v18
	v_mul_f32_e32 v29, 0x3f65296c, v12
	v_fmac_f32_e32 v18, 0x3ee437d1, v16
	v_sub_f32_e32 v24, v71, v24
	v_fmac_f32_e32 v32, 0xbf7ba420, v16
	v_add_f32_e32 v28, v31, v28
	v_fma_f32 v31, 0x3ee437d1, v10, -v29
	v_add_f32_e32 v5, v5, v18
	v_mul_f32_e32 v18, 0xbf7ee86f, v12
	v_fmac_f32_e32 v29, 0x3ee437d1, v10
	v_add_f32_e32 v24, v24, v25
	v_add_f32_e32 v13, v31, v13
	v_mul_f32_e32 v25, 0x3f4c4adb, v12
	v_fma_f32 v31, 0x3dbcf732, v10, -v18
	v_fmac_f32_e32 v18, 0x3dbcf732, v10
	v_add_f32_e32 v15, v29, v15
	v_mul_f32_e32 v29, 0xbeb8f4ab, v12
	v_add_f32_e32 v16, v33, v32
	v_fma_f32 v32, 0xbf1a4643, v10, -v25
	v_add_f32_e32 v21, v31, v21
	v_add_f32_e32 v17, v18, v17
	v_fmac_f32_e32 v25, 0xbf1a4643, v10
	v_fma_f32 v18, 0x3f6eb680, v10, -v29
	v_mul_f32_e32 v31, 0xbe3c28d5, v12
	v_mul_f32_e32 v11, 0xbf7ba420, v8
	v_add_f32_e32 v9, v32, v9
	v_add_f32_e32 v25, v25, v30
	;; [unrolled: 1-line block ×3, first 2 shown]
	v_mul_f32_e32 v26, 0x3f2c7751, v12
	v_fma_f32 v30, 0xbf7ba420, v10, -v31
	v_fmac_f32_e32 v31, 0xbf7ba420, v10
	v_mul_f32_e32 v12, 0xbf763a35, v12
	v_sub_f32_e32 v11, v11, v14
	v_fma_f32 v32, 0x3f3d2fb0, v10, -v26
	v_fmac_f32_e32 v26, 0x3f3d2fb0, v10
	v_add_f32_e32 v19, v31, v19
	v_mul_f32_e32 v31, 0x3eb8f4ab, v4
	v_add_f32_e32 v23, v30, v23
	v_fma_f32 v30, 0xbe8c1d8e, v10, -v12
	v_add_f32_e32 v16, v26, v16
	v_fmac_f32_e32 v12, 0xbe8c1d8e, v10
	v_fma_f32 v14, 0x3f6eb680, v8, -v31
	v_mul_f32_e32 v26, 0xbf06c442, v4
	v_fmac_f32_e32 v29, 0x3f6eb680, v10
	v_add_f32_e32 v10, v30, v28
	v_add_f32_e32 v5, v12, v5
	;; [unrolled: 1-line block ×3, first 2 shown]
	v_fma_f32 v13, 0xbf59a7d5, v8, -v26
	v_mul_f32_e32 v14, 0x3f2c7751, v4
	v_mul_f32_e32 v28, 0x3f65296c, v4
	v_add_f32_e32 v11, v24, v11
	v_fmac_f32_e32 v26, 0xbf59a7d5, v8
	v_add_f32_e32 v13, v21, v13
	v_fma_f32 v21, 0x3f3d2fb0, v8, -v14
	v_fmac_f32_e32 v14, 0x3f3d2fb0, v8
	v_mul_f32_e32 v24, 0xbf4c4adb, v4
	v_add_f32_e32 v17, v17, v26
	v_add_f32_e32 v27, v32, v27
	;; [unrolled: 1-line block ×4, first 2 shown]
	v_fma_f32 v21, 0x3ee437d1, v8, -v28
	v_mul_f32_e32 v25, 0xbf763a35, v4
	v_fma_f32 v26, 0xbf1a4643, v8, -v24
	v_mul_f32_e32 v4, 0x3f7ee86f, v4
	v_add_f32_e32 v29, v29, v34
	v_add_f32_e32 v21, v23, v21
	v_fma_f32 v23, 0xbe8c1d8e, v8, -v25
	v_add_f32_e32 v18, v18, v26
	v_fma_f32 v26, 0x3dbcf732, v8, -v4
	v_fmac_f32_e32 v4, 0x3dbcf732, v8
	v_fmac_f32_e32 v31, 0x3f6eb680, v8
	v_fmac_f32_e32 v24, 0xbf1a4643, v8
	v_fmac_f32_e32 v28, 0x3ee437d1, v8
	v_fmac_f32_e32 v25, 0xbe8c1d8e, v8
	v_lshl_add_u32 v8, v0, 6, v66
	v_add_f32_e32 v23, v27, v23
	v_add_f32_e32 v10, v10, v26
	;; [unrolled: 1-line block ×7, first 2 shown]
	ds_write2_b32 v8, v7, v11 offset1:1
	ds_write2_b32 v8, v12, v13 offset0:2 offset1:3
	ds_write2_b32 v8, v9, v18 offset0:4 offset1:5
	;; [unrolled: 1-line block ×7, first 2 shown]
	ds_write_b32 v8, v74 offset:64
.LBB0_15:
	s_or_b32 exec_lo, exec_lo, s1
	v_and_b32_e32 v4, 0xff, v0
	v_add_nc_u32_e32 v69, 51, v0
	v_add_nc_u32_e32 v70, 0x66, v0
	;; [unrolled: 1-line block ×4, first 2 shown]
	v_mul_lo_u16 v4, 0xf1, v4
	v_and_b32_e32 v5, 0xff, v69
	v_and_b32_e32 v7, 0xff, v70
	v_add_nc_u32_e32 v71, 0xff, v0
	v_and_b32_e32 v75, 0xff, v68
	v_lshrrev_b16 v10, 12, v4
	v_add_nc_u32_e32 v72, 0x132, v0
	v_mov_b32_e32 v9, 0xf0f1
	v_mul_lo_u16 v76, 0xf1, v5
	v_add_nc_u32_e32 v73, 0x165, v0
	v_mul_lo_u16 v4, v10, 17
	v_mul_lo_u16 v77, 0xf1, v7
	;; [unrolled: 1-line block ×3, first 2 shown]
	v_mul_u32_u24_sdwa v17, v72, v9 dst_sel:DWORD dst_unused:UNUSED_PAD src0_sel:WORD_0 src1_sel:DWORD
	v_lshrrev_b16 v11, 12, v76
	v_sub_nc_u16 v13, v0, v4
	v_and_b32_e32 v4, 0xff, v67
	v_lshrrev_b16 v12, 12, v77
	v_lshrrev_b16 v19, 12, v78
	v_lshrrev_b32_e32 v17, 20, v17
	v_mul_lo_u16 v5, v11, 17
	v_mul_lo_u16 v79, 0xf1, v4
	v_mul_u32_u24_sdwa v4, v71, v9 dst_sel:DWORD dst_unused:UNUSED_PAD src0_sel:WORD_0 src1_sel:DWORD
	v_mul_u32_u24_sdwa v9, v73, v9 dst_sel:DWORD dst_unused:UNUSED_PAD src0_sel:WORD_0 src1_sel:DWORD
	v_mov_b32_e32 v8, 3
	v_mul_lo_u16 v7, v12, 17
	v_lshrrev_b16 v18, 12, v79
	v_lshrrev_b32_e32 v21, 20, v4
	v_lshrrev_b32_e32 v23, 20, v9
	v_mul_lo_u16 v9, v19, 17
	v_mul_lo_u16 v25, v17, 17
	;; [unrolled: 1-line block ×4, first 2 shown]
	v_sub_nc_u16 v14, v69, v5
	v_lshlrev_b32_sdwa v5, v8, v13 dst_sel:DWORD dst_unused:UNUSED_PAD src0_sel:DWORD src1_sel:BYTE_0
	v_mul_lo_u16 v26, v23, 17
	v_sub_nc_u16 v15, v70, v7
	v_sub_nc_u16 v82, v67, v4
	;; [unrolled: 1-line block ×5, first 2 shown]
	s_waitcnt lgkmcnt(0)
	s_barrier
	buffer_gl0_inv
	v_lshlrev_b32_sdwa v7, v8, v14 dst_sel:DWORD dst_unused:UNUSED_PAD src0_sel:DWORD src1_sel:BYTE_0
	v_sub_nc_u16 v85, v73, v26
	global_load_dwordx2 v[28:29], v5, s[8:9]
	v_lshlrev_b32_sdwa v16, v8, v15 dst_sel:DWORD dst_unused:UNUSED_PAD src0_sel:DWORD src1_sel:BYTE_0
	v_lshlrev_b32_sdwa v4, v8, v82 dst_sel:DWORD dst_unused:UNUSED_PAD src0_sel:DWORD src1_sel:BYTE_0
	;; [unrolled: 1-line block ×3, first 2 shown]
	v_lshlrev_b32_sdwa v9, v8, v81 dst_sel:DWORD dst_unused:UNUSED_PAD src0_sel:DWORD src1_sel:WORD_0
	v_lshlrev_b32_sdwa v24, v8, v84 dst_sel:DWORD dst_unused:UNUSED_PAD src0_sel:DWORD src1_sel:WORD_0
	;; [unrolled: 1-line block ×3, first 2 shown]
	s_clause 0x6
	global_load_dwordx2 v[30:31], v7, s[8:9]
	global_load_dwordx2 v[32:33], v16, s[8:9]
	;; [unrolled: 1-line block ×7, first 2 shown]
	ds_read2_b32 v[8:9], v66 offset1:51
	ds_read2_b32 v[58:59], v20 offset0:152 offset1:203
	ds_read2_b32 v[4:5], v66 offset0:102 offset1:153
	;; [unrolled: 1-line block ×7, first 2 shown]
	v_mov_b32_e32 v16, 0x88
	v_mov_b32_e32 v86, 2
	v_mul_u32_u24_e32 v17, 0x88, v17
	v_mul_u32_u24_e32 v23, 0x88, v23
	v_mul_u32_u24_e32 v21, 0x88, v21
	v_mul_u32_u24_sdwa v10, v10, v16 dst_sel:DWORD dst_unused:UNUSED_PAD src0_sel:WORD_0 src1_sel:DWORD
	v_lshlrev_b32_sdwa v13, v86, v13 dst_sel:DWORD dst_unused:UNUSED_PAD src0_sel:DWORD src1_sel:BYTE_0
	v_lshlrev_b32_sdwa v84, v86, v84 dst_sel:DWORD dst_unused:UNUSED_PAD src0_sel:DWORD src1_sel:WORD_0
	v_mul_u32_u24_sdwa v11, v11, v16 dst_sel:DWORD dst_unused:UNUSED_PAD src0_sel:WORD_0 src1_sel:DWORD
	v_mul_u32_u24_sdwa v12, v12, v16 dst_sel:DWORD dst_unused:UNUSED_PAD src0_sel:WORD_0 src1_sel:DWORD
	;; [unrolled: 1-line block ×4, first 2 shown]
	v_lshlrev_b32_sdwa v19, v86, v81 dst_sel:DWORD dst_unused:UNUSED_PAD src0_sel:DWORD src1_sel:WORD_0
	v_lshlrev_b32_sdwa v85, v86, v85 dst_sel:DWORD dst_unused:UNUSED_PAD src0_sel:DWORD src1_sel:WORD_0
	v_add3_u32 v81, 0, v10, v13
	v_lshlrev_b32_sdwa v10, v86, v14 dst_sel:DWORD dst_unused:UNUSED_PAD src0_sel:DWORD src1_sel:BYTE_0
	v_lshlrev_b32_sdwa v13, v86, v15 dst_sel:DWORD dst_unused:UNUSED_PAD src0_sel:DWORD src1_sel:BYTE_0
	;; [unrolled: 1-line block ×4, first 2 shown]
	v_add3_u32 v83, 0, v17, v84
	v_add3_u32 v84, 0, v23, v85
	;; [unrolled: 1-line block ×6, first 2 shown]
	v_add_nc_u32_e32 v80, 0x200, v66
	v_add3_u32 v82, 0, v21, v19
	s_waitcnt vmcnt(0) lgkmcnt(0)
	s_barrier
	buffer_gl0_inv
	v_cmp_gt_u32_e64 s0, 17, v0
	v_mul_f32_e32 v17, v58, v29
	v_mul_f32_e32 v10, v59, v31
	;; [unrolled: 1-line block ×5, first 2 shown]
	v_fmac_f32_e32 v17, v44, v28
	v_mul_f32_e32 v15, v64, v25
	v_mul_f32_e32 v14, v63, v55
	;; [unrolled: 1-line block ×3, first 2 shown]
	v_fmac_f32_e32 v10, v45, v30
	v_fmac_f32_e32 v11, v42, v32
	;; [unrolled: 1-line block ×5, first 2 shown]
	v_sub_f32_e32 v17, v46, v17
	v_fmac_f32_e32 v14, v41, v54
	v_fmac_f32_e32 v16, v39, v26
	v_sub_f32_e32 v10, v47, v10
	v_sub_f32_e32 v11, v48, v11
	v_sub_f32_e32 v12, v49, v12
	v_sub_f32_e32 v13, v50, v13
	v_sub_f32_e32 v15, v52, v15
	v_fma_f32 v18, v46, 2.0, -v17
	v_sub_f32_e32 v14, v51, v14
	v_sub_f32_e32 v46, v53, v16
	v_fma_f32 v16, v47, 2.0, -v10
	v_fma_f32 v19, v48, 2.0, -v11
	;; [unrolled: 1-line block ×7, first 2 shown]
	ds_write2_b32 v81, v18, v17 offset1:17
	ds_write2_b32 v85, v16, v10 offset1:17
	;; [unrolled: 1-line block ×8, first 2 shown]
	s_waitcnt lgkmcnt(0)
	s_barrier
	buffer_gl0_inv
	ds_read2_b32 v[12:13], v66 offset1:51
	ds_read2_b32 v[10:11], v80 offset0:76 offset1:144
	ds_read2_b32 v[16:17], v22 offset0:32 offset1:83
	;; [unrolled: 1-line block ×6, first 2 shown]
	ds_read_b32 v48, v66 offset:2992
                                        ; implicit-def: $vgpr47
	s_and_saveexec_b32 s1, s0
	s_cbranch_execz .LBB0_17
; %bb.16:
	ds_read_b32 v46, v66 offset:1020
	ds_read_b32 v1, v66 offset:2108
	;; [unrolled: 1-line block ×3, first 2 shown]
.LBB0_17:
	s_or_b32 exec_lo, exec_lo, s1
	v_mul_f32_e32 v29, v44, v29
	v_mul_f32_e32 v31, v45, v31
	;; [unrolled: 1-line block ×5, first 2 shown]
	v_fma_f32 v28, v58, v28, -v29
	v_mul_f32_e32 v29, v41, v55
	v_mul_f32_e32 v25, v38, v25
	;; [unrolled: 1-line block ×3, first 2 shown]
	v_fma_f32 v30, v59, v30, -v31
	v_fma_f32 v31, v60, v32, -v33
	;; [unrolled: 1-line block ×5, first 2 shown]
	v_sub_f32_e32 v28, v8, v28
	v_fma_f32 v24, v64, v24, -v25
	v_fma_f32 v25, v65, v26, -v27
	v_sub_f32_e32 v30, v9, v30
	v_sub_f32_e32 v31, v4, v31
	;; [unrolled: 1-line block ×4, first 2 shown]
	v_fma_f32 v8, v8, 2.0, -v28
	v_sub_f32_e32 v29, v7, v29
	v_sub_f32_e32 v24, v56, v24
	;; [unrolled: 1-line block ×3, first 2 shown]
	v_fma_f32 v9, v9, 2.0, -v30
	v_fma_f32 v4, v4, 2.0, -v31
	;; [unrolled: 1-line block ×7, first 2 shown]
	s_waitcnt lgkmcnt(0)
	s_barrier
	buffer_gl0_inv
	ds_write2_b32 v81, v8, v28 offset1:17
	ds_write2_b32 v85, v9, v30 offset1:17
	;; [unrolled: 1-line block ×8, first 2 shown]
	v_add_nc_u32_e32 v28, 0x800, v66
	v_add_nc_u32_e32 v29, 0x400, v66
	s_waitcnt lgkmcnt(0)
	s_barrier
	buffer_gl0_inv
	ds_read2_b32 v[6:7], v66 offset1:51
	ds_read2_b32 v[4:5], v80 offset0:76 offset1:144
	ds_read2_b32 v[24:25], v28 offset0:32 offset1:83
	;; [unrolled: 1-line block ×6, first 2 shown]
	ds_read_b32 v34, v66 offset:2992
                                        ; implicit-def: $vgpr33
	s_and_saveexec_b32 s1, s0
	s_cbranch_execz .LBB0_19
; %bb.18:
	ds_read_b32 v32, v66 offset:1020
	ds_read_b32 v74, v66 offset:2108
	;; [unrolled: 1-line block ×3, first 2 shown]
.LBB0_19:
	s_or_b32 exec_lo, exec_lo, s1
	v_lshrrev_b16 v37, 13, v77
	v_lshrrev_b16 v38, 13, v79
	;; [unrolled: 1-line block ×3, first 2 shown]
	v_mov_b32_e32 v39, 4
	v_subrev_nc_u32_e32 v43, 34, v0
	v_mul_lo_u16 v35, v37, 34
	v_mul_lo_u16 v36, v38, 34
	v_cmp_gt_u32_e64 s1, 34, v0
	v_lshrrev_b16 v49, 13, v76
	v_sub_nc_u16 v41, v70, v35
	v_mul_lo_u16 v35, v40, 34
	v_sub_nc_u16 v42, v67, v36
	v_cndmask_b32_e64 v43, v43, v0, s1
	v_mul_lo_u16 v62, v49, 34
	v_lshlrev_b32_sdwa v36, v39, v41 dst_sel:DWORD dst_unused:UNUSED_PAD src0_sel:DWORD src1_sel:BYTE_0
	v_sub_nc_u16 v44, v68, v35
	v_lshlrev_b32_sdwa v35, v39, v42 dst_sel:DWORD dst_unused:UNUSED_PAD src0_sel:DWORD src1_sel:BYTE_0
	v_sub_nc_u16 v84, v69, v62
	global_load_dwordx4 v[50:53], v36, s[8:9] offset:136
	v_lshlrev_b32_sdwa v45, v39, v44 dst_sel:DWORD dst_unused:UNUSED_PAD src0_sel:DWORD src1_sel:BYTE_0
	global_load_dwordx4 v[54:57], v35, s[8:9] offset:136
	v_mov_b32_e32 v36, 0
	v_lshlrev_b32_e32 v35, 1, v43
	v_lshlrev_b32_sdwa v39, v39, v84 dst_sel:DWORD dst_unused:UNUSED_PAD src0_sel:DWORD src1_sel:BYTE_0
	global_load_dwordx4 v[58:61], v45, s[8:9] offset:136
	v_mov_b32_e32 v45, 0xf0f1
	v_lshlrev_b64 v[35:36], 3, v[35:36]
	v_mul_u32_u24_sdwa v45, v71, v45 dst_sel:DWORD dst_unused:UNUSED_PAD src0_sel:WORD_0 src1_sel:DWORD
	v_add_co_u32 v35, s1, s8, v35
	v_add_co_ci_u32_e64 v36, s1, s9, v36, s1
	v_lshrrev_b32_e32 v45, 21, v45
	s_clause 0x1
	global_load_dwordx4 v[62:65], v[35:36], off offset:136
	global_load_dwordx4 v[76:79], v39, s[8:9] offset:136
	v_cmp_lt_u32_e64 s1, 33, v0
	v_mul_lo_u16 v35, v45, 34
	v_mov_b32_e32 v45, 2
	v_cndmask_b32_e64 v39, 0, 0x198, s1
	v_sub_nc_u16 v35, v71, v35
	v_lshlrev_b32_sdwa v41, v45, v41 dst_sel:DWORD dst_unused:UNUSED_PAD src0_sel:DWORD src1_sel:BYTE_0
	v_lshlrev_b32_sdwa v42, v45, v42 dst_sel:DWORD dst_unused:UNUSED_PAD src0_sel:DWORD src1_sel:BYTE_0
	;; [unrolled: 1-line block ×3, first 2 shown]
	v_and_b32_e32 v35, 0xffff, v35
	v_lshlrev_b32_e32 v36, 4, v35
	v_lshl_add_u32 v35, v35, 2, 0
	global_load_dwordx4 v[80:83], v36, s[8:9] offset:136
	v_mov_b32_e32 v36, 0x198
	s_waitcnt vmcnt(0) lgkmcnt(0)
	s_barrier
	buffer_gl0_inv
	v_mul_u32_u24_sdwa v49, v49, v36 dst_sel:DWORD dst_unused:UNUSED_PAD src0_sel:WORD_0 src1_sel:DWORD
	v_mul_u32_u24_sdwa v37, v37, v36 dst_sel:DWORD dst_unused:UNUSED_PAD src0_sel:WORD_0 src1_sel:DWORD
	;; [unrolled: 1-line block ×3, first 2 shown]
	v_lshlrev_b32_e32 v38, 2, v43
	v_lshlrev_b32_sdwa v43, v45, v84 dst_sel:DWORD dst_unused:UNUSED_PAD src0_sel:DWORD src1_sel:BYTE_0
	v_mul_u32_u24_sdwa v36, v40, v36 dst_sel:DWORD dst_unused:UNUSED_PAD src0_sel:WORD_0 src1_sel:DWORD
	v_add3_u32 v40, 0, v39, v38
	v_add3_u32 v39, 0, v49, v43
	;; [unrolled: 1-line block ×5, first 2 shown]
	v_mul_f32_e32 v45, v27, v51
	v_mul_f32_e32 v51, v19, v51
	;; [unrolled: 1-line block ×12, first 2 shown]
	v_fmac_f32_e32 v45, v19, v50
	v_fma_f32 v50, v27, v50, -v51
	v_fma_f32 v27, v30, v52, -v53
	v_fmac_f32_e32 v41, v20, v54
	v_fma_f32 v20, v29, v58, -v59
	v_fma_f32 v19, v28, v54, -v55
	v_fmac_f32_e32 v43, v23, v56
	v_fmac_f32_e32 v42, v21, v58
	;; [unrolled: 1-line block ×3, first 2 shown]
	v_mul_f32_e32 v29, v5, v63
	v_mul_f32_e32 v30, v24, v65
	;; [unrolled: 1-line block ×4, first 2 shown]
	v_fma_f32 v22, v31, v56, -v57
	v_fma_f32 v23, v34, v60, -v61
	v_mul_f32_e32 v31, v11, v63
	v_mul_f32_e32 v34, v16, v65
	;; [unrolled: 1-line block ×3, first 2 shown]
	v_add_f32_e32 v53, v14, v45
	v_fmac_f32_e32 v29, v11, v62
	v_fmac_f32_e32 v30, v16, v64
	v_mul_f32_e32 v51, v18, v77
	v_add_f32_e32 v57, v41, v43
	v_fmac_f32_e32 v21, v18, v76
	v_fmac_f32_e32 v28, v17, v78
	;; [unrolled: 1-line block ×3, first 2 shown]
	v_add_f32_e32 v54, v45, v49
	v_fma_f32 v48, v5, v62, -v31
	v_fma_f32 v16, v24, v64, -v34
	;; [unrolled: 1-line block ×3, first 2 shown]
	v_add_f32_e32 v25, v53, v49
	v_add_f32_e32 v53, v29, v30
	;; [unrolled: 1-line block ×4, first 2 shown]
	v_fma_f32 v18, v26, v76, -v51
	v_fmac_f32_e32 v15, -0.5, v57
	v_add_f32_e32 v57, v21, v28
	v_add_f32_e32 v60, v42, v44
	v_mul_f32_e32 v5, v74, v81
	v_mul_f32_e32 v17, v1, v81
	;; [unrolled: 1-line block ×4, first 2 shown]
	v_fma_f32 v14, -0.5, v54, v14
	v_add_f32_e32 v52, v12, v29
	v_sub_f32_e32 v54, v48, v16
	v_fma_f32 v12, -0.5, v53, v12
	v_add_f32_e32 v26, v56, v43
	v_add_f32_e32 v51, v59, v44
	;; [unrolled: 1-line block ×3, first 2 shown]
	v_sub_f32_e32 v59, v18, v11
	v_fmac_f32_e32 v13, -0.5, v57
	v_sub_f32_e32 v55, v50, v27
	v_sub_f32_e32 v58, v19, v22
	;; [unrolled: 1-line block ×3, first 2 shown]
	v_fmac_f32_e32 v10, -0.5, v60
	v_fmac_f32_e32 v5, v1, v80
	v_fma_f32 v34, v74, v80, -v17
	v_fmac_f32_e32 v31, v47, v82
	v_fma_f32 v1, v33, v82, -v24
	v_add_f32_e32 v47, v52, v30
	v_fmamk_f32 v53, v54, 0xbf5db3d7, v12
	v_fmac_f32_e32 v12, 0x3f5db3d7, v54
	v_add_f32_e32 v52, v56, v28
	v_fmamk_f32 v54, v59, 0xbf5db3d7, v13
	v_fmac_f32_e32 v13, 0x3f5db3d7, v59
	v_fmamk_f32 v17, v55, 0xbf5db3d7, v14
	v_fmac_f32_e32 v14, 0x3f5db3d7, v55
	;; [unrolled: 2-line block ×4, first 2 shown]
	ds_write2_b32 v40, v47, v53 offset1:34
	ds_write_b32 v40, v12 offset:272
	ds_write2_b32 v39, v52, v54 offset1:34
	ds_write_b32 v39, v13 offset:272
	;; [unrolled: 2-line block ×5, first 2 shown]
	s_and_saveexec_b32 s1, s0
	s_cbranch_execz .LBB0_21
; %bb.20:
	v_add_f32_e32 v10, v5, v31
	v_sub_f32_e32 v12, v34, v1
	v_add_f32_e32 v13, v46, v5
	v_add_nc_u32_e32 v14, 0x800, v35
	v_fma_f32 v10, -0.5, v10, v46
	v_add_f32_e32 v13, v13, v31
	v_fmamk_f32 v15, v12, 0x3f5db3d7, v10
	v_fmac_f32_e32 v10, 0xbf5db3d7, v12
	ds_write2_b32 v14, v13, v10 offset0:202 offset1:236
	ds_write_b32 v35, v15 offset:3128
.LBB0_21:
	s_or_b32 exec_lo, exec_lo, s1
	v_add_f32_e32 v10, v48, v16
	v_add_f32_e32 v12, v6, v48
	;; [unrolled: 1-line block ×4, first 2 shown]
	v_sub_f32_e32 v13, v29, v30
	v_fma_f32 v6, -0.5, v10, v6
	v_add_f32_e32 v10, v7, v18
	v_add_f32_e32 v33, v12, v16
	v_fmac_f32_e32 v7, -0.5, v14
	v_sub_f32_e32 v12, v21, v28
	v_add_nc_u32_e32 v28, 0x400, v66
	v_add_f32_e32 v47, v10, v11
	v_add_f32_e32 v10, v8, v50
	v_fma_f32 v8, -0.5, v15, v8
	v_sub_f32_e32 v11, v45, v49
	v_add_nc_u32_e32 v29, 0x600, v66
	v_add_nc_u32_e32 v30, 0x800, v66
	v_add_f32_e32 v48, v10, v27
	v_add_f32_e32 v10, v19, v22
	v_fmamk_f32 v49, v11, 0x3f5db3d7, v8
	v_fmac_f32_e32 v8, 0xbf5db3d7, v11
	v_add_f32_e32 v11, v20, v23
	v_fmamk_f32 v46, v13, 0x3f5db3d7, v6
	v_fmac_f32_e32 v6, 0xbf5db3d7, v13
	v_fmamk_f32 v45, v12, 0x3f5db3d7, v7
	v_fmac_f32_e32 v7, 0xbf5db3d7, v12
	v_add_f32_e32 v50, v9, v19
	v_fmac_f32_e32 v9, -0.5, v10
	v_sub_f32_e32 v41, v41, v43
	v_add_f32_e32 v43, v4, v20
	v_fmac_f32_e32 v4, -0.5, v11
	s_waitcnt lgkmcnt(0)
	s_barrier
	buffer_gl0_inv
	ds_read2_b32 v[18:19], v66 offset1:51
	ds_read2_b32 v[26:27], v28 offset0:152 offset1:203
	ds_read2_b32 v[20:21], v66 offset0:102 offset1:153
	;; [unrolled: 1-line block ×7, first 2 shown]
	v_sub_f32_e32 v42, v42, v44
	v_add_f32_e32 v22, v50, v22
	v_fmamk_f32 v44, v41, 0x3f5db3d7, v9
	v_fmac_f32_e32 v9, 0xbf5db3d7, v41
	v_add_f32_e32 v23, v43, v23
	v_fmamk_f32 v41, v42, 0x3f5db3d7, v4
	v_fmac_f32_e32 v4, 0xbf5db3d7, v42
	s_waitcnt lgkmcnt(0)
	s_barrier
	buffer_gl0_inv
	ds_write2_b32 v40, v33, v46 offset1:34
	ds_write_b32 v40, v6 offset:272
	ds_write2_b32 v39, v47, v45 offset1:34
	ds_write_b32 v39, v7 offset:272
	;; [unrolled: 2-line block ×5, first 2 shown]
	s_and_saveexec_b32 s1, s0
	s_cbranch_execz .LBB0_23
; %bb.22:
	v_add_f32_e32 v4, v34, v1
	v_add_f32_e32 v6, v32, v34
	v_sub_f32_e32 v5, v5, v31
	v_fmac_f32_e32 v32, -0.5, v4
	v_add_nc_u32_e32 v4, 0x800, v35
	v_add_f32_e32 v1, v6, v1
	v_fmamk_f32 v6, v5, 0x3f5db3d7, v32
	v_fmamk_f32 v5, v5, 0xbf5db3d7, v32
	ds_write2_b32 v4, v1, v6 offset0:202 offset1:236
	ds_write_b32 v35, v5 offset:3128
.LBB0_23:
	s_or_b32 exec_lo, exec_lo, s1
	v_mov_b32_e32 v1, 0
	v_mov_b32_e32 v22, 0xa0a1
	s_waitcnt lgkmcnt(0)
	s_barrier
	buffer_gl0_inv
	v_lshlrev_b64 v[4:5], 3, v[0:1]
	v_mul_lo_u16 v1, 0xa1, v75
	v_mul_u32_u24_sdwa v23, v71, v22 dst_sel:DWORD dst_unused:UNUSED_PAD src0_sel:WORD_0 src1_sel:DWORD
	v_mul_u32_u24_sdwa v31, v72, v22 dst_sel:DWORD dst_unused:UNUSED_PAD src0_sel:WORD_0 src1_sel:DWORD
	;; [unrolled: 1-line block ×3, first 2 shown]
	v_lshrrev_b16 v1, 14, v1
	v_lshrrev_b32_e32 v23, 22, v23
	v_add_co_u32 v4, s0, s8, v4
	v_lshrrev_b32_e32 v31, 22, v31
	v_mul_lo_u16 v1, 0x66, v1
	v_lshrrev_b32_e32 v22, 22, v22
	v_add_co_ci_u32_e64 v5, s0, s9, v5, s0
	v_mul_lo_u16 v23, 0x66, v23
	v_sub_nc_u16 v1, v68, v1
	v_mul_lo_u16 v33, 0x66, v31
	v_mul_lo_u16 v22, 0x66, v22
	s_clause 0x1
	global_load_dwordx2 v[6:7], v[4:5], off offset:680
	global_load_dwordx2 v[8:9], v[4:5], off offset:1088
	v_sub_nc_u16 v23, v71, v23
	v_and_b32_e32 v1, 0xff, v1
	v_sub_nc_u16 v33, v72, v33
	v_sub_nc_u16 v22, v73, v22
	v_and_b32_e32 v55, 0xffff, v23
	v_lshlrev_b32_e32 v32, 3, v1
	v_and_b32_e32 v56, 0xffff, v33
	v_and_b32_e32 v57, 0xffff, v22
	v_lshl_add_u32 v1, v1, 2, 0
	v_lshlrev_b32_e32 v22, 3, v55
	global_load_dwordx2 v[31:32], v32, s[8:9] offset:680
	v_lshlrev_b32_e32 v23, 3, v56
	v_lshlrev_b32_e32 v37, 3, v57
	s_clause 0x2
	global_load_dwordx2 v[33:34], v22, s[8:9] offset:680
	global_load_dwordx2 v[35:36], v23, s[8:9] offset:680
	;; [unrolled: 1-line block ×3, first 2 shown]
	ds_read2_b32 v[39:40], v66 offset1:51
	ds_read2_b32 v[41:42], v28 offset0:152 offset1:203
	ds_read2_b32 v[43:44], v66 offset0:102 offset1:153
	;; [unrolled: 1-line block ×7, first 2 shown]
	s_waitcnt vmcnt(0) lgkmcnt(0)
	s_barrier
	buffer_gl0_inv
	v_lshl_add_u32 v55, v55, 2, 0
	v_lshl_add_u32 v56, v56, 2, 0
	;; [unrolled: 1-line block ×3, first 2 shown]
	v_add_nc_u32_e32 v1, 0x400, v1
	v_add_co_u32 v22, s0, 0x330, v4
	v_add_nc_u32_e32 v55, 0x400, v55
	v_add_nc_u32_e32 v56, 0x800, v56
	;; [unrolled: 1-line block ×3, first 2 shown]
	v_add_co_ci_u32_e64 v23, s0, 0, v5, s0
	v_mul_f32_e32 v58, v41, v7
	v_mul_f32_e32 v60, v42, v9
	;; [unrolled: 1-line block ×8, first 2 shown]
	v_fmac_f32_e32 v58, v26, v6
	v_fmac_f32_e32 v60, v27, v8
	v_fma_f32 v26, v41, v6, -v59
	v_fma_f32 v27, v42, v8, -v61
	v_fmac_f32_e32 v62, v24, v6
	v_fma_f32 v6, v45, v6, -v7
	v_fmac_f32_e32 v63, v25, v8
	v_fma_f32 v7, v46, v8, -v9
	v_sub_f32_e32 v8, v18, v58
	v_sub_f32_e32 v9, v19, v60
	;; [unrolled: 1-line block ×8, first 2 shown]
	v_mul_f32_e32 v7, v49, v32
	v_mul_f32_e32 v32, v16, v32
	v_fma_f32 v18, v18, 2.0, -v8
	ds_write2_b32 v66, v8, v9 offset0:102 offset1:153
	ds_write2_b32 v28, v26, v6 offset0:50 offset1:101
	v_mul_f32_e32 v8, v50, v34
	v_fma_f32 v19, v19, 2.0, -v9
	v_fmac_f32_e32 v7, v16, v31
	v_mul_f32_e32 v9, v17, v34
	v_mul_f32_e32 v16, v53, v36
	v_fma_f32 v20, v20, 2.0, -v26
	v_fma_f32 v21, v21, 2.0, -v6
	v_fma_f32 v6, v49, v31, -v32
	v_mul_f32_e32 v26, v14, v36
	v_mul_f32_e32 v31, v54, v38
	;; [unrolled: 1-line block ×3, first 2 shown]
	v_fmac_f32_e32 v8, v17, v33
	v_fma_f32 v9, v50, v33, -v9
	v_fmac_f32_e32 v16, v14, v35
	v_sub_f32_e32 v33, v47, v6
	v_fma_f32 v6, v53, v35, -v26
	v_fmac_f32_e32 v31, v15, v37
	v_sub_f32_e32 v7, v12, v7
	v_fma_f32 v14, v54, v37, -v32
	v_sub_f32_e32 v8, v13, v8
	v_sub_f32_e32 v32, v48, v9
	;; [unrolled: 1-line block ×5, first 2 shown]
	v_fma_f32 v39, v39, 2.0, -v24
	v_fma_f32 v40, v40, 2.0, -v25
	;; [unrolled: 1-line block ×3, first 2 shown]
	v_sub_f32_e32 v31, v52, v14
	v_fma_f32 v13, v13, 2.0, -v8
	v_fma_f32 v42, v43, 2.0, -v27
	;; [unrolled: 1-line block ×6, first 2 shown]
	ds_write2_b32 v66, v18, v19 offset1:51
	ds_write2_b32 v66, v20, v21 offset0:204 offset1:255
	v_fma_f32 v35, v48, 2.0, -v32
	v_fma_f32 v36, v51, 2.0, -v34
	;; [unrolled: 1-line block ×3, first 2 shown]
	ds_write2_b32 v1, v12, v7 offset0:152 offset1:254
	ds_write2_b32 v55, v13, v8 offset0:152 offset1:254
	;; [unrolled: 1-line block ×4, first 2 shown]
	s_waitcnt lgkmcnt(0)
	s_barrier
	buffer_gl0_inv
	ds_read2_b32 v[6:7], v66 offset1:51
	ds_read2_b32 v[8:9], v28 offset0:152 offset1:203
	ds_read2_b32 v[10:11], v66 offset0:102 offset1:153
	;; [unrolled: 1-line block ×7, first 2 shown]
	s_waitcnt lgkmcnt(0)
	s_barrier
	buffer_gl0_inv
	ds_write2_b32 v66, v39, v40 offset1:51
	ds_write2_b32 v66, v24, v25 offset0:102 offset1:153
	ds_write2_b32 v66, v42, v43 offset0:204 offset1:255
	;; [unrolled: 1-line block ×7, first 2 shown]
	v_add_co_u32 v24, s0, 0x4c8, v4
	v_add_co_ci_u32_e64 v25, s0, 0, v5, s0
	s_waitcnt lgkmcnt(0)
	s_barrier
	buffer_gl0_inv
	s_clause 0x3
	global_load_dwordx2 v[26:27], v[4:5], off offset:1496
	global_load_dwordx2 v[31:32], v[4:5], off offset:1904
	;; [unrolled: 1-line block ×4, first 2 shown]
	ds_read2_b32 v[37:38], v28 offset0:152 offset1:203
	ds_read2_b32 v[39:40], v29 offset0:126 offset1:177
	;; [unrolled: 1-line block ×4, first 2 shown]
	ds_read2_b32 v[45:46], v66 offset1:51
	ds_read2_b32 v[47:48], v66 offset0:102 offset1:153
	ds_read2_b32 v[49:50], v66 offset0:204 offset1:255
	;; [unrolled: 1-line block ×3, first 2 shown]
	s_waitcnt vmcnt(0) lgkmcnt(0)
	s_barrier
	buffer_gl0_inv
	v_mul_f32_e32 v54, v38, v32
	v_mul_f32_e32 v1, v37, v27
	;; [unrolled: 1-line block ×16, first 2 shown]
	v_fmac_f32_e32 v1, v8, v26
	v_fma_f32 v8, v37, v26, -v53
	v_fmac_f32_e32 v54, v9, v31
	v_fma_f32 v9, v38, v31, -v55
	;; [unrolled: 2-line block ×8, first 2 shown]
	v_sub_f32_e32 v1, v6, v1
	v_sub_f32_e32 v26, v45, v8
	;; [unrolled: 1-line block ×15, first 2 shown]
	v_fma_f32 v6, v6, 2.0, -v1
	v_fma_f32 v7, v7, 2.0, -v8
	;; [unrolled: 1-line block ×8, first 2 shown]
	v_sub_f32_e32 v36, v52, v21
	ds_write2_b32 v66, v1, v8 offset0:204 offset1:255
	ds_write2_b32 v28, v9, v12 offset0:50 offset1:101
	;; [unrolled: 1-line block ×4, first 2 shown]
	ds_write2_b32 v66, v6, v7 offset1:51
	ds_write2_b32 v66, v10, v11 offset0:102 offset1:153
	ds_write2_b32 v28, v14, v15 offset0:152 offset1:203
	;; [unrolled: 1-line block ×3, first 2 shown]
	s_waitcnt lgkmcnt(0)
	s_barrier
	buffer_gl0_inv
	ds_read2_b32 v[6:7], v66 offset1:51
	ds_read2_b32 v[12:13], v28 offset0:152 offset1:203
	ds_read2_b32 v[8:9], v66 offset0:102 offset1:153
	;; [unrolled: 1-line block ×7, first 2 shown]
	v_fma_f32 v37, v45, 2.0, -v26
	v_fma_f32 v38, v46, 2.0, -v27
	;; [unrolled: 1-line block ×8, first 2 shown]
	s_waitcnt lgkmcnt(0)
	s_barrier
	buffer_gl0_inv
	ds_write2_b32 v66, v37, v38 offset1:51
	ds_write2_b32 v66, v26, v27 offset0:204 offset1:255
	ds_write2_b32 v66, v39, v1 offset0:102 offset1:153
	;; [unrolled: 1-line block ×7, first 2 shown]
	s_waitcnt lgkmcnt(0)
	s_barrier
	buffer_gl0_inv
	s_and_saveexec_b32 s0, vcc_lo
	s_cbranch_execz .LBB0_25
; %bb.24:
	v_add_co_u32 v26, vcc_lo, 0x1000, v4
	v_add_co_ci_u32_e32 v27, vcc_lo, 0, v5, vcc_lo
	v_add_co_u32 v24, vcc_lo, 0x800, v24
	v_add_co_ci_u32_e32 v25, vcc_lo, 0, v25, vcc_lo
	;; [unrolled: 2-line block ×4, first 2 shown]
	s_clause 0x1
	global_load_dwordx2 v[28:29], v[26:27], off offset:1888
	global_load_dwordx2 v[30:31], v[26:27], off offset:1480
	v_add_co_u32 v34, vcc_lo, 0x800, v1
	v_add_co_ci_u32_e32 v35, vcc_lo, 0, v35, vcc_lo
	v_add_co_u32 v4, vcc_lo, 0x800, v4
	v_add_co_ci_u32_e32 v5, vcc_lo, 0, v5, vcc_lo
	s_clause 0x5
	global_load_dwordx2 v[32:33], v[26:27], off offset:1072
	global_load_dwordx2 v[26:27], v[26:27], off offset:664
	;; [unrolled: 1-line block ×6, first 2 shown]
	v_mad_u64_u32 v[42:43], null, s2, v0, 0
	v_add_nc_u32_e32 v74, 0x198, v0
	v_add_nc_u32_e32 v75, 0x1cb, v0
	v_mad_u64_u32 v[44:45], null, s2, v70, 0
	v_add_nc_u32_e32 v76, 0x1fe, v0
	v_mad_u64_u32 v[46:47], null, s2, v67, 0
	v_mul_hi_u32 v62, 0xa0a0a0a1, v68
	v_mul_hi_u32 v63, 0xa0a0a0a1, v71
	v_mad_u64_u32 v[48:49], null, s2, v72, 0
	v_add_co_u32 v85, vcc_lo, s12, v2
	v_mad_u64_u32 v[1:2], null, s2, v69, 0
	v_mad_u64_u32 v[52:53], null, s2, v74, 0
	;; [unrolled: 1-line block ×3, first 2 shown]
	v_add_co_ci_u32_e32 v86, vcc_lo, s13, v3, vcc_lo
	v_mul_hi_u32 v64, 0xa0a0a0a1, v73
	v_mad_u64_u32 v[56:57], null, s2, v76, 0
	v_mov_b32_e32 v3, v43
	v_add_nc_u32_e32 v77, 0x231, v0
	v_add_nc_u32_e32 v78, 0x2ca, v0
	v_mov_b32_e32 v43, v45
	v_mov_b32_e32 v45, v47
	v_add_nc_u32_e32 v83, 0x400, v66
	v_add_nc_u32_e32 v82, 0x800, v66
	ds_read2_b32 v[36:37], v66 offset0:204 offset1:255
	ds_read2_b32 v[38:39], v66 offset0:102 offset1:153
	v_add_nc_u32_e32 v84, 0x600, v66
	ds_read2_b32 v[40:41], v66 offset1:51
	v_lshrrev_b32_e32 v66, 8, v62
	v_lshrrev_b32_e32 v79, 8, v63
	v_mov_b32_e32 v47, v49
	v_mad_u64_u32 v[58:59], null, s2, v77, 0
	v_mad_u64_u32 v[60:61], null, s2, v78, 0
	v_lshrrev_b32_e32 v49, 8, v64
	v_mad_u32_u24 v80, 0x198, v66, v68
	v_mad_u32_u24 v79, 0x198, v79, v71
	ds_read2_b32 v[50:51], v83 offset0:50 offset1:101
	v_mad_u32_u24 v81, 0x198, v49, v73
	v_add_nc_u32_e32 v87, 0x198, v80
	v_add_nc_u32_e32 v88, 0x198, v79
	;; [unrolled: 1-line block ×3, first 2 shown]
	s_waitcnt vmcnt(0)
	v_mad_u64_u32 v[62:63], null, s3, v0, v[3:4]
	v_mov_b32_e32 v0, v53
	v_mad_u64_u32 v[2:3], null, s3, v69, v[2:3]
	v_mov_b32_e32 v3, v55
	;; [unrolled: 2-line block ×3, first 2 shown]
	v_mad_u64_u32 v[64:65], null, s3, v67, v[45:46]
	v_mad_u64_u32 v[65:66], null, s3, v72, v[47:48]
	;; [unrolled: 1-line block ×5, first 2 shown]
	v_mov_b32_e32 v43, v62
	v_mov_b32_e32 v45, v59
	;; [unrolled: 1-line block ×3, first 2 shown]
	v_mad_u64_u32 v[72:73], null, s2, v79, 0
	v_lshlrev_b64 v[42:43], 3, v[42:43]
	v_mad_u64_u32 v[69:70], null, s3, v77, v[45:46]
	v_mov_b32_e32 v45, v63
	v_mad_u64_u32 v[70:71], null, s2, v80, 0
	v_mad_u64_u32 v[61:62], null, s3, v78, v[0:1]
	v_lshlrev_b64 v[0:1], 3, v[1:2]
	v_mov_b32_e32 v47, v64
	v_lshlrev_b64 v[2:3], 3, v[44:45]
	v_add_co_u32 v42, vcc_lo, v85, v42
	v_mov_b32_e32 v49, v65
	v_add_co_ci_u32_e32 v43, vcc_lo, v86, v43, vcc_lo
	v_lshlrev_b64 v[44:45], 3, v[46:47]
	v_add_co_u32 v0, vcc_lo, v85, v0
	v_mad_u64_u32 v[74:75], null, s2, v81, 0
	v_mov_b32_e32 v53, v66
	v_mov_b32_e32 v46, v71
	;; [unrolled: 1-line block ×3, first 2 shown]
	v_add_co_ci_u32_e32 v1, vcc_lo, v86, v1, vcc_lo
	v_mad_u64_u32 v[62:63], null, s2, v87, 0
	v_mad_u64_u32 v[64:65], null, s2, v88, 0
	v_lshlrev_b64 v[48:49], 3, v[48:49]
	v_add_co_u32 v2, vcc_lo, v85, v2
	v_mov_b32_e32 v55, v67
	v_add_co_ci_u32_e32 v3, vcc_lo, v86, v3, vcc_lo
	v_mov_b32_e32 v57, v68
	v_lshlrev_b64 v[52:53], 3, v[52:53]
	v_mad_u64_u32 v[67:68], null, s3, v80, v[46:47]
	v_add_co_u32 v44, vcc_lo, v85, v44
	v_mad_u64_u32 v[76:77], null, s2, v89, 0
	v_add_co_ci_u32_e32 v45, vcc_lo, v86, v45, vcc_lo
	v_mov_b32_e32 v59, v69
	v_mov_b32_e32 v66, v75
	v_lshlrev_b64 v[54:55], 3, v[54:55]
	v_mad_u64_u32 v[68:69], null, s3, v79, v[47:48]
	v_add_co_u32 v48, vcc_lo, v85, v48
	v_mov_b32_e32 v46, v63
	v_mov_b32_e32 v47, v65
	v_add_co_ci_u32_e32 v49, vcc_lo, v86, v49, vcc_lo
	v_lshlrev_b64 v[56:57], 3, v[56:57]
	v_add_co_u32 v52, vcc_lo, v85, v52
	v_mad_u64_u32 v[65:66], null, s3, v81, v[66:67]
	v_add_co_ci_u32_e32 v53, vcc_lo, v86, v53, vcc_lo
	v_lshlrev_b64 v[58:59], 3, v[58:59]
	v_add_co_u32 v54, vcc_lo, v85, v54
	v_mov_b32_e32 v63, v77
	v_mad_u64_u32 v[77:78], null, s3, v87, v[46:47]
	v_mad_u64_u32 v[46:47], null, s3, v88, v[47:48]
	v_mov_b32_e32 v71, v67
	v_add_co_ci_u32_e32 v55, vcc_lo, v86, v55, vcc_lo
	v_lshlrev_b64 v[60:61], 3, v[60:61]
	v_add_co_u32 v56, vcc_lo, v85, v56
	v_mov_b32_e32 v73, v68
	v_add_co_ci_u32_e32 v57, vcc_lo, v86, v57, vcc_lo
	v_add_co_u32 v58, vcc_lo, v85, v58
	v_mad_u64_u32 v[80:81], null, s3, v89, v[63:64]
	v_lshlrev_b64 v[68:69], 3, v[70:71]
	ds_read2_b32 v[78:79], v82 offset0:202 offset1:253
	ds_read2_b32 v[81:82], v82 offset0:100 offset1:151
	v_mov_b32_e32 v75, v65
	v_add_co_ci_u32_e32 v59, vcc_lo, v86, v59, vcc_lo
	ds_read2_b32 v[66:67], v84 offset0:126 offset1:177
	ds_read2_b32 v[83:84], v83 offset0:152 offset1:203
	v_add_co_u32 v60, vcc_lo, v85, v60
	v_mov_b32_e32 v65, v46
	v_lshlrev_b64 v[46:47], 3, v[72:73]
	v_mov_b32_e32 v63, v77
	v_add_co_ci_u32_e32 v61, vcc_lo, v86, v61, vcc_lo
	v_lshlrev_b64 v[70:71], 3, v[74:75]
	v_add_co_u32 v68, vcc_lo, v85, v68
	v_add_co_ci_u32_e32 v69, vcc_lo, v86, v69, vcc_lo
	v_lshlrev_b64 v[62:63], 3, v[62:63]
	v_add_co_u32 v46, vcc_lo, v85, v46
	v_mov_b32_e32 v77, v80
	v_add_co_ci_u32_e32 v47, vcc_lo, v86, v47, vcc_lo
	v_lshlrev_b64 v[64:65], 3, v[64:65]
	v_add_co_u32 v70, vcc_lo, v85, v70
	v_add_co_ci_u32_e32 v71, vcc_lo, v86, v71, vcc_lo
	v_lshlrev_b64 v[72:73], 3, v[76:77]
	v_add_co_u32 v62, vcc_lo, v85, v62
	v_add_co_ci_u32_e32 v63, vcc_lo, v86, v63, vcc_lo
	v_add_co_u32 v64, vcc_lo, v85, v64
	v_add_co_ci_u32_e32 v65, vcc_lo, v86, v65, vcc_lo
	v_add_co_u32 v72, vcc_lo, v85, v72
	v_mul_f32_e32 v74, v21, v29
	s_waitcnt lgkmcnt(3)
	v_mul_f32_e32 v29, v79, v29
	v_mul_f32_e32 v75, v20, v31
	;; [unrolled: 1-line block ×4, first 2 shown]
	s_waitcnt lgkmcnt(2)
	v_mul_f32_e32 v27, v81, v27
	v_mul_f32_e32 v80, v17, v25
	s_waitcnt lgkmcnt(1)
	v_mul_f32_e32 v85, v67, v25
	v_mul_f32_e32 v25, v16, v23
	;; [unrolled: 1-line block ×4, first 2 shown]
	v_add_co_ci_u32_e32 v73, vcc_lo, v86, v73, vcc_lo
	v_mul_f32_e32 v86, v66, v23
	v_fma_f32 v23, v28, v79, -v74
	v_fmac_f32_e32 v29, v21, v28
	v_fma_f32 v21, v30, v78, -v75
	v_fmac_f32_e32 v31, v20, v30
	;; [unrolled: 2-line block ×3, first 2 shown]
	v_fma_f32 v26, v24, v67, -v80
	v_fma_f32 v30, v22, v66, -v25
	v_mul_f32_e32 v66, v12, v5
	s_waitcnt lgkmcnt(0)
	v_mul_f32_e32 v67, v83, v5
	v_fma_f32 v20, v32, v82, -v76
	v_fmac_f32_e32 v33, v19, v32
	v_mul_f32_e32 v32, v13, v35
	v_mul_f32_e32 v35, v84, v35
	v_fmac_f32_e32 v86, v16, v22
	v_sub_f32_e32 v22, v10, v27
	v_sub_f32_e32 v27, v38, v30
	v_fma_f32 v30, v4, v83, -v66
	v_fmac_f32_e32 v67, v12, v4
	v_fmac_f32_e32 v85, v17, v24
	v_sub_f32_e32 v17, v51, v23
	v_sub_f32_e32 v23, v36, v28
	v_fma_f32 v28, v34, v84, -v32
	v_fmac_f32_e32 v35, v13, v34
	v_sub_f32_e32 v18, v14, v31
	v_sub_f32_e32 v31, v40, v30
	;; [unrolled: 1-line block ×12, first 2 shown]
	v_fma_f32 v35, v40, 2.0, -v31
	v_fma_f32 v34, v6, 2.0, -v30
	;; [unrolled: 1-line block ×16, first 2 shown]
	global_store_dwordx2 v[42:43], v[34:35], off
	global_store_dwordx2 v[52:53], v[30:31], off
	;; [unrolled: 1-line block ×16, first 2 shown]
.LBB0_25:
	s_endpgm
	.section	.rodata,"a",@progbits
	.p2align	6, 0x0
	.amdhsa_kernel fft_rtc_back_len816_factors_17_2_3_2_2_2_wgs_51_tpt_51_halfLds_sp_ip_CI_sbrr_dirReg
		.amdhsa_group_segment_fixed_size 0
		.amdhsa_private_segment_fixed_size 0
		.amdhsa_kernarg_size 88
		.amdhsa_user_sgpr_count 6
		.amdhsa_user_sgpr_private_segment_buffer 1
		.amdhsa_user_sgpr_dispatch_ptr 0
		.amdhsa_user_sgpr_queue_ptr 0
		.amdhsa_user_sgpr_kernarg_segment_ptr 1
		.amdhsa_user_sgpr_dispatch_id 0
		.amdhsa_user_sgpr_flat_scratch_init 0
		.amdhsa_user_sgpr_private_segment_size 0
		.amdhsa_wavefront_size32 1
		.amdhsa_uses_dynamic_stack 0
		.amdhsa_system_sgpr_private_segment_wavefront_offset 0
		.amdhsa_system_sgpr_workgroup_id_x 1
		.amdhsa_system_sgpr_workgroup_id_y 0
		.amdhsa_system_sgpr_workgroup_id_z 0
		.amdhsa_system_sgpr_workgroup_info 0
		.amdhsa_system_vgpr_workitem_id 0
		.amdhsa_next_free_vgpr 90
		.amdhsa_next_free_sgpr 23
		.amdhsa_reserve_vcc 1
		.amdhsa_reserve_flat_scratch 0
		.amdhsa_float_round_mode_32 0
		.amdhsa_float_round_mode_16_64 0
		.amdhsa_float_denorm_mode_32 3
		.amdhsa_float_denorm_mode_16_64 3
		.amdhsa_dx10_clamp 1
		.amdhsa_ieee_mode 1
		.amdhsa_fp16_overflow 0
		.amdhsa_workgroup_processor_mode 1
		.amdhsa_memory_ordered 1
		.amdhsa_forward_progress 0
		.amdhsa_shared_vgpr_count 0
		.amdhsa_exception_fp_ieee_invalid_op 0
		.amdhsa_exception_fp_denorm_src 0
		.amdhsa_exception_fp_ieee_div_zero 0
		.amdhsa_exception_fp_ieee_overflow 0
		.amdhsa_exception_fp_ieee_underflow 0
		.amdhsa_exception_fp_ieee_inexact 0
		.amdhsa_exception_int_div_zero 0
	.end_amdhsa_kernel
	.text
.Lfunc_end0:
	.size	fft_rtc_back_len816_factors_17_2_3_2_2_2_wgs_51_tpt_51_halfLds_sp_ip_CI_sbrr_dirReg, .Lfunc_end0-fft_rtc_back_len816_factors_17_2_3_2_2_2_wgs_51_tpt_51_halfLds_sp_ip_CI_sbrr_dirReg
                                        ; -- End function
	.section	.AMDGPU.csdata,"",@progbits
; Kernel info:
; codeLenInByte = 13716
; NumSgprs: 25
; NumVgprs: 90
; ScratchSize: 0
; MemoryBound: 0
; FloatMode: 240
; IeeeMode: 1
; LDSByteSize: 0 bytes/workgroup (compile time only)
; SGPRBlocks: 3
; VGPRBlocks: 11
; NumSGPRsForWavesPerEU: 25
; NumVGPRsForWavesPerEU: 90
; Occupancy: 10
; WaveLimiterHint : 1
; COMPUTE_PGM_RSRC2:SCRATCH_EN: 0
; COMPUTE_PGM_RSRC2:USER_SGPR: 6
; COMPUTE_PGM_RSRC2:TRAP_HANDLER: 0
; COMPUTE_PGM_RSRC2:TGID_X_EN: 1
; COMPUTE_PGM_RSRC2:TGID_Y_EN: 0
; COMPUTE_PGM_RSRC2:TGID_Z_EN: 0
; COMPUTE_PGM_RSRC2:TIDIG_COMP_CNT: 0
	.text
	.p2alignl 6, 3214868480
	.fill 48, 4, 3214868480
	.type	__hip_cuid_b7ae1a74552dcde2,@object ; @__hip_cuid_b7ae1a74552dcde2
	.section	.bss,"aw",@nobits
	.globl	__hip_cuid_b7ae1a74552dcde2
__hip_cuid_b7ae1a74552dcde2:
	.byte	0                               ; 0x0
	.size	__hip_cuid_b7ae1a74552dcde2, 1

	.ident	"AMD clang version 19.0.0git (https://github.com/RadeonOpenCompute/llvm-project roc-6.4.0 25133 c7fe45cf4b819c5991fe208aaa96edf142730f1d)"
	.section	".note.GNU-stack","",@progbits
	.addrsig
	.addrsig_sym __hip_cuid_b7ae1a74552dcde2
	.amdgpu_metadata
---
amdhsa.kernels:
  - .args:
      - .actual_access:  read_only
        .address_space:  global
        .offset:         0
        .size:           8
        .value_kind:     global_buffer
      - .offset:         8
        .size:           8
        .value_kind:     by_value
      - .actual_access:  read_only
        .address_space:  global
        .offset:         16
        .size:           8
        .value_kind:     global_buffer
      - .actual_access:  read_only
        .address_space:  global
        .offset:         24
        .size:           8
        .value_kind:     global_buffer
      - .offset:         32
        .size:           8
        .value_kind:     by_value
      - .actual_access:  read_only
        .address_space:  global
        .offset:         40
        .size:           8
        .value_kind:     global_buffer
      - .actual_access:  read_only
        .address_space:  global
        .offset:         48
        .size:           8
        .value_kind:     global_buffer
      - .offset:         56
        .size:           4
        .value_kind:     by_value
      - .actual_access:  read_only
        .address_space:  global
        .offset:         64
        .size:           8
        .value_kind:     global_buffer
      - .actual_access:  read_only
        .address_space:  global
        .offset:         72
        .size:           8
        .value_kind:     global_buffer
      - .address_space:  global
        .offset:         80
        .size:           8
        .value_kind:     global_buffer
    .group_segment_fixed_size: 0
    .kernarg_segment_align: 8
    .kernarg_segment_size: 88
    .language:       OpenCL C
    .language_version:
      - 2
      - 0
    .max_flat_workgroup_size: 51
    .name:           fft_rtc_back_len816_factors_17_2_3_2_2_2_wgs_51_tpt_51_halfLds_sp_ip_CI_sbrr_dirReg
    .private_segment_fixed_size: 0
    .sgpr_count:     25
    .sgpr_spill_count: 0
    .symbol:         fft_rtc_back_len816_factors_17_2_3_2_2_2_wgs_51_tpt_51_halfLds_sp_ip_CI_sbrr_dirReg.kd
    .uniform_work_group_size: 1
    .uses_dynamic_stack: false
    .vgpr_count:     90
    .vgpr_spill_count: 0
    .wavefront_size: 32
    .workgroup_processor_mode: 1
amdhsa.target:   amdgcn-amd-amdhsa--gfx1030
amdhsa.version:
  - 1
  - 2
...

	.end_amdgpu_metadata
